;; amdgpu-corpus repo=ROCm/rocFFT kind=compiled arch=gfx950 opt=O3
	.text
	.amdgcn_target "amdgcn-amd-amdhsa--gfx950"
	.amdhsa_code_object_version 6
	.protected	bluestein_single_back_len1820_dim1_dp_op_CI_CI ; -- Begin function bluestein_single_back_len1820_dim1_dp_op_CI_CI
	.globl	bluestein_single_back_len1820_dim1_dp_op_CI_CI
	.p2align	8
	.type	bluestein_single_back_len1820_dim1_dp_op_CI_CI,@function
bluestein_single_back_len1820_dim1_dp_op_CI_CI: ; @bluestein_single_back_len1820_dim1_dp_op_CI_CI
; %bb.0:
	s_load_dwordx4 s[4:7], s[0:1], 0x28
	v_mul_u32_u24_e32 v1, 0x169, v0
	v_add_u32_sdwa v8, s2, v1 dst_sel:DWORD dst_unused:UNUSED_PAD src0_sel:DWORD src1_sel:WORD_1
	v_mov_b32_e32 v9, 0
	s_waitcnt lgkmcnt(0)
	v_cmp_gt_u64_e32 vcc, s[4:5], v[8:9]
	s_and_saveexec_b64 s[2:3], vcc
	s_cbranch_execz .LBB0_18
; %bb.1:
	s_load_dwordx4 s[12:15], s[0:1], 0x18
	s_load_dwordx4 s[8:11], s[0:1], 0x0
	v_mov_b32_e32 v2, s6
	v_mov_b32_e32 v3, s7
	s_movk_i32 s2, 0xb6
	s_waitcnt lgkmcnt(0)
	s_load_dwordx4 s[4:7], s[12:13], 0x0
	v_mul_lo_u16_sdwa v1, v1, s2 dst_sel:DWORD dst_unused:UNUSED_PAD src0_sel:WORD_1 src1_sel:DWORD
	v_sub_u16_e32 v56, v0, v1
	v_mov_b32_e32 v30, 0xb60
	v_lshlrev_b32_e32 v212, 4, v56
	s_waitcnt lgkmcnt(0)
	v_mad_u64_u32 v[0:1], s[2:3], s6, v8, 0
	v_mov_b32_e32 v4, v1
	v_mad_u64_u32 v[4:5], s[2:3], s7, v8, v[4:5]
	v_mov_b32_e32 v1, v4
	v_mad_u64_u32 v[4:5], s[2:3], s4, v56, 0
	v_mov_b32_e32 v6, v5
	v_mad_u64_u32 v[6:7], s[2:3], s5, v56, v[6:7]
	v_mov_b32_e32 v5, v6
	v_lshl_add_u64 v[0:1], v[0:1], 4, v[2:3]
	v_lshl_add_u64 v[2:3], v[4:5], 4, v[0:1]
	global_load_dwordx4 v[40:43], v[2:3], off
	v_mad_u64_u32 v[2:3], s[2:3], s4, v30, v[2:3]
	s_mul_i32 s2, s5, 0xb60
	s_nop 0
	v_add_u32_e32 v3, s2, v3
	v_mov_b32_e32 v213, v9
	v_mad_u64_u32 v[4:5], s[6:7], s4, v30, v[2:3]
	v_lshl_add_u64 v[0:1], s[8:9], 0, v[212:213]
	v_add_u32_e32 v5, s2, v5
	s_movk_i32 s3, 0x1000
	global_load_dwordx4 v[52:55], v212, s[8:9]
	global_load_dwordx4 v[34:37], v212, s[8:9] offset:2912
	global_load_dwordx4 v[48:51], v[2:3], off
	global_load_dwordx4 v[44:47], v[4:5], off
	v_add_co_u32_e32 v2, vcc, s3, v0
	v_mad_u64_u32 v[10:11], s[6:7], s4, v30, v[4:5]
	s_nop 0
	v_addc_co_u32_e32 v3, vcc, 0, v1, vcc
	v_add_u32_e32 v11, s2, v11
	s_movk_i32 s3, 0x2000
	v_add_co_u32_e32 v14, vcc, s3, v0
	v_mad_u64_u32 v[12:13], s[6:7], s4, v30, v[10:11]
	s_nop 0
	v_addc_co_u32_e32 v15, vcc, 0, v1, vcc
	global_load_dwordx4 v[74:77], v[2:3], off offset:1728
	global_load_dwordx4 v[58:61], v[14:15], off offset:544
	v_add_u32_e32 v13, s2, v13
	s_movk_i32 s3, 0x3000
	v_accvgpr_write_b32 a0, v8
	global_load_dwordx4 v[2:5], v[10:11], off
	global_load_dwordx4 v[6:9], v[12:13], off
	v_mad_u64_u32 v[16:17], s[6:7], s4, v30, v[12:13]
	v_add_co_u32_e32 v18, vcc, s3, v0
	v_add_u32_e32 v17, s2, v17
	s_nop 0
	v_addc_co_u32_e32 v19, vcc, 0, v1, vcc
	global_load_dwordx4 v[10:13], v[16:17], off
	global_load_dwordx4 v[78:81], v[14:15], off offset:3456
	global_load_dwordx4 v[62:65], v[18:19], off offset:2272
	v_mad_u64_u32 v[18:19], s[6:7], s4, v30, v[16:17]
	v_add_u32_e32 v19, s2, v19
	v_mad_u64_u32 v[24:25], s[6:7], s4, v30, v[18:19]
	s_movk_i32 s3, 0x4000
	v_add_u32_e32 v25, s2, v25
	global_load_dwordx4 v[14:17], v[18:19], off
	v_add_co_u32_e32 v22, vcc, s3, v0
	v_mad_u64_u32 v[26:27], s[6:7], s4, v30, v[24:25]
	s_nop 0
	v_addc_co_u32_e32 v23, vcc, 0, v1, vcc
	global_load_dwordx4 v[18:21], v[24:25], off
	global_load_dwordx4 v[86:89], v[22:23], off offset:1088
	global_load_dwordx4 v[70:73], v[22:23], off offset:4000
	v_add_u32_e32 v27, s2, v27
	s_movk_i32 s3, 0x5000
	global_load_dwordx4 v[22:25], v[26:27], off
	v_add_co_u32_e32 v28, vcc, s3, v0
	v_mad_u64_u32 v[26:27], s[4:5], s4, v30, v[26:27]
	s_nop 0
	v_addc_co_u32_e32 v29, vcc, 0, v1, vcc
	v_add_u32_e32 v27, s2, v27
	s_movk_i32 s2, 0x6000
	global_load_dwordx4 v[66:69], v[28:29], off offset:2816
	v_add_co_u32_e32 v0, vcc, s2, v0
	global_load_dwordx4 v[26:29], v[26:27], off
	s_nop 0
	v_addc_co_u32_e32 v1, vcc, 0, v1, vcc
	global_load_dwordx4 v[82:85], v[0:1], off offset:1632
	s_load_dwordx2 s[12:13], s[0:1], 0x38
	s_load_dwordx4 s[4:7], s[14:15], 0x0
	s_mov_b32 s16, 0x134454ff
	s_mov_b32 s17, 0x3fee6f0e
	;; [unrolled: 1-line block ×12, first 2 shown]
                                        ; implicit-def: $vgpr128_vgpr129
                                        ; implicit-def: $vgpr132_vgpr133
                                        ; implicit-def: $vgpr136_vgpr137
	s_waitcnt vmcnt(18)
	v_mul_f64 v[30:31], v[42:43], v[54:55]
	v_mul_f64 v[0:1], v[40:41], v[54:55]
	v_fmac_f64_e32 v[30:31], v[40:41], v[52:53]
	v_fma_f64 v[32:33], v[42:43], v[52:53], -v[0:1]
	ds_write_b128 v212, v[30:33]
	s_waitcnt vmcnt(16)
	v_mul_f64 v[30:31], v[50:51], v[36:37]
	v_mul_f64 v[0:1], v[48:49], v[36:37]
	v_fmac_f64_e32 v[30:31], v[48:49], v[34:35]
	v_fma_f64 v[32:33], v[50:51], v[34:35], -v[0:1]
	ds_write_b128 v212, v[30:33] offset:2912
	v_accvgpr_write_b32 a2, v34
	v_accvgpr_write_b32 a3, v35
	;; [unrolled: 1-line block ×6, first 2 shown]
	s_waitcnt vmcnt(14)
	v_mul_f64 v[0:1], v[44:45], v[76:77]
	v_fma_f64 v[32:33], v[46:47], v[74:75], -v[0:1]
	v_mul_f64 v[30:31], v[46:47], v[76:77]
	v_fmac_f64_e32 v[30:31], v[44:45], v[74:75]
	s_waitcnt vmcnt(12)
	v_mul_f64 v[0:1], v[4:5], v[60:61]
	v_fmac_f64_e32 v[0:1], v[2:3], v[58:59]
	v_mul_f64 v[2:3], v[2:3], v[60:61]
	v_fma_f64 v[2:3], v[4:5], v[58:59], -v[2:3]
	ds_write_b128 v212, v[0:3] offset:8736
	ds_write_b128 v212, v[30:33] offset:5824
	v_accvgpr_write_b32 a8, v54
	v_accvgpr_write_b32 a9, v55
	;; [unrolled: 1-line block ×3, first 2 shown]
	s_waitcnt vmcnt(9)
	v_mul_f64 v[0:1], v[8:9], v[80:81]
	v_mul_f64 v[2:3], v[6:7], v[80:81]
	v_fmac_f64_e32 v[0:1], v[6:7], v[78:79]
	v_fma_f64 v[2:3], v[8:9], v[78:79], -v[2:3]
	ds_write_b128 v212, v[0:3] offset:11648
	s_waitcnt vmcnt(8)
	v_mul_f64 v[0:1], v[12:13], v[64:65]
	v_mul_f64 v[2:3], v[10:11], v[64:65]
	v_fmac_f64_e32 v[0:1], v[10:11], v[62:63]
	v_fma_f64 v[2:3], v[12:13], v[62:63], -v[2:3]
	ds_write_b128 v212, v[0:3] offset:14560
	v_accvgpr_write_b32 a10, v58
	v_accvgpr_write_b32 a30, v78
	;; [unrolled: 1-line block ×5, first 2 shown]
	s_waitcnt vmcnt(5)
	v_mul_f64 v[0:1], v[16:17], v[88:89]
	v_mul_f64 v[2:3], v[14:15], v[88:89]
	v_fmac_f64_e32 v[0:1], v[14:15], v[86:87]
	v_fma_f64 v[2:3], v[16:17], v[86:87], -v[2:3]
	ds_write_b128 v212, v[0:3] offset:17472
	s_waitcnt vmcnt(4)
	v_mul_f64 v[0:1], v[20:21], v[72:73]
	v_mul_f64 v[2:3], v[18:19], v[72:73]
	v_fmac_f64_e32 v[0:1], v[18:19], v[70:71]
	v_fma_f64 v[2:3], v[20:21], v[70:71], -v[2:3]
	ds_write_b128 v212, v[0:3] offset:20384
	v_accvgpr_write_b32 a38, v86
	v_accvgpr_write_b32 a39, v87
	;; [unrolled: 1-line block ×3, first 2 shown]
	s_waitcnt vmcnt(2)
	v_mul_f64 v[0:1], v[24:25], v[68:69]
	v_mul_f64 v[2:3], v[22:23], v[68:69]
	v_fmac_f64_e32 v[0:1], v[22:23], v[66:67]
	v_fma_f64 v[2:3], v[24:25], v[66:67], -v[2:3]
	ds_write_b128 v212, v[0:3] offset:23296
	v_accvgpr_write_b32 a41, v89
	s_waitcnt vmcnt(0)
	v_mul_f64 v[0:1], v[28:29], v[84:85]
	v_mul_f64 v[2:3], v[26:27], v[84:85]
	v_fmac_f64_e32 v[0:1], v[26:27], v[82:83]
	v_fma_f64 v[2:3], v[28:29], v[82:83], -v[2:3]
	ds_write_b128 v212, v[0:3] offset:26208
	s_waitcnt lgkmcnt(0)
	s_barrier
	ds_read_b128 v[40:43], v212
	ds_read_b128 v[44:47], v212 offset:2912
	ds_read_b128 v[0:3], v212 offset:5824
	;; [unrolled: 1-line block ×9, first 2 shown]
	s_waitcnt lgkmcnt(5)
	v_add_f64 v[50:51], v[0:1], -v[8:9]
	s_waitcnt lgkmcnt(3)
	v_add_f64 v[34:35], v[8:9], v[16:17]
	v_fma_f64 v[34:35], -0.5, v[34:35], v[40:41]
	s_waitcnt lgkmcnt(1)
	v_add_f64 v[36:37], v[2:3], -v[26:27]
	v_fma_f64 v[38:39], s[16:17], v[36:37], v[34:35]
	v_add_f64 v[48:49], v[10:11], -v[18:19]
	v_add_f64 v[52:53], v[24:25], -v[16:17]
	v_fmac_f64_e32 v[34:35], s[2:3], v[36:37]
	v_fmac_f64_e32 v[38:39], s[18:19], v[48:49]
	v_add_f64 v[50:51], v[50:51], v[52:53]
	v_fmac_f64_e32 v[34:35], s[14:15], v[48:49]
	v_fmac_f64_e32 v[38:39], s[0:1], v[50:51]
	;; [unrolled: 1-line block ×3, first 2 shown]
	v_add_f64 v[50:51], v[0:1], v[24:25]
	v_add_f64 v[32:33], v[40:41], v[0:1]
	v_fmac_f64_e32 v[40:41], -0.5, v[50:51]
	v_add_f64 v[32:33], v[32:33], v[8:9]
	v_fma_f64 v[50:51], s[2:3], v[48:49], v[40:41]
	v_add_f64 v[52:53], v[8:9], -v[0:1]
	v_add_f64 v[54:55], v[16:17], -v[24:25]
	v_fmac_f64_e32 v[40:41], s[16:17], v[48:49]
	v_add_f64 v[48:49], v[10:11], v[18:19]
	v_add_f64 v[32:33], v[32:33], v[16:17]
	v_fmac_f64_e32 v[50:51], s[18:19], v[36:37]
	v_add_f64 v[52:53], v[52:53], v[54:55]
	v_fmac_f64_e32 v[40:41], s[14:15], v[36:37]
	v_fma_f64 v[48:49], -0.5, v[48:49], v[42:43]
	v_add_f64 v[0:1], v[0:1], -v[24:25]
	v_add_f64 v[32:33], v[32:33], v[24:25]
	v_fmac_f64_e32 v[50:51], s[0:1], v[52:53]
	v_fmac_f64_e32 v[40:41], s[0:1], v[52:53]
	v_fma_f64 v[24:25], s[2:3], v[0:1], v[48:49]
	v_add_f64 v[8:9], v[8:9], -v[16:17]
	v_add_f64 v[16:17], v[2:3], -v[10:11]
	;; [unrolled: 1-line block ×3, first 2 shown]
	v_fmac_f64_e32 v[48:49], s[16:17], v[0:1]
	v_fmac_f64_e32 v[24:25], s[14:15], v[8:9]
	v_add_f64 v[16:17], v[16:17], v[52:53]
	v_fmac_f64_e32 v[48:49], s[18:19], v[8:9]
	v_fmac_f64_e32 v[24:25], s[0:1], v[16:17]
	;; [unrolled: 1-line block ×3, first 2 shown]
	v_add_f64 v[16:17], v[2:3], v[26:27]
	v_add_f64 v[36:37], v[42:43], v[2:3]
	v_fmac_f64_e32 v[42:43], -0.5, v[16:17]
	v_add_f64 v[36:37], v[36:37], v[10:11]
	v_fma_f64 v[16:17], s[16:17], v[8:9], v[42:43]
	v_add_f64 v[2:3], v[10:11], -v[2:3]
	v_add_f64 v[10:11], v[18:19], -v[26:27]
	v_fmac_f64_e32 v[42:43], s[2:3], v[8:9]
	v_fmac_f64_e32 v[16:17], s[14:15], v[0:1]
	v_add_f64 v[2:3], v[2:3], v[10:11]
	v_fmac_f64_e32 v[42:43], s[18:19], v[0:1]
	v_fmac_f64_e32 v[16:17], s[0:1], v[2:3]
	;; [unrolled: 1-line block ×3, first 2 shown]
	v_add_f64 v[2:3], v[12:13], v[20:21]
	v_add_f64 v[36:37], v[36:37], v[18:19]
	v_fma_f64 v[2:3], -0.5, v[2:3], v[44:45]
	s_waitcnt lgkmcnt(0)
	v_add_f64 v[8:9], v[6:7], -v[30:31]
	v_add_f64 v[36:37], v[36:37], v[26:27]
	v_fma_f64 v[10:11], s[16:17], v[8:9], v[2:3]
	v_add_f64 v[18:19], v[14:15], -v[22:23]
	v_add_f64 v[26:27], v[4:5], -v[12:13]
	;; [unrolled: 1-line block ×3, first 2 shown]
	v_fmac_f64_e32 v[2:3], s[2:3], v[8:9]
	v_fmac_f64_e32 v[10:11], s[18:19], v[18:19]
	v_add_f64 v[26:27], v[26:27], v[52:53]
	v_fmac_f64_e32 v[2:3], s[14:15], v[18:19]
	v_fmac_f64_e32 v[10:11], s[0:1], v[26:27]
	;; [unrolled: 1-line block ×3, first 2 shown]
	v_add_f64 v[26:27], v[4:5], v[28:29]
	v_add_f64 v[0:1], v[44:45], v[4:5]
	v_fmac_f64_e32 v[44:45], -0.5, v[26:27]
	v_add_f64 v[0:1], v[0:1], v[12:13]
	v_fma_f64 v[26:27], s[2:3], v[18:19], v[44:45]
	v_add_f64 v[52:53], v[12:13], -v[4:5]
	v_add_f64 v[54:55], v[20:21], -v[28:29]
	v_fmac_f64_e32 v[44:45], s[16:17], v[18:19]
	v_add_f64 v[18:19], v[14:15], v[22:23]
	v_add_f64 v[0:1], v[0:1], v[20:21]
	v_fmac_f64_e32 v[26:27], s[18:19], v[8:9]
	v_add_f64 v[52:53], v[52:53], v[54:55]
	v_fmac_f64_e32 v[44:45], s[14:15], v[8:9]
	v_fma_f64 v[18:19], -0.5, v[18:19], v[46:47]
	v_add_f64 v[4:5], v[4:5], -v[28:29]
	v_add_f64 v[0:1], v[0:1], v[28:29]
	v_fmac_f64_e32 v[26:27], s[0:1], v[52:53]
	v_fmac_f64_e32 v[44:45], s[0:1], v[52:53]
	v_fma_f64 v[28:29], s[2:3], v[4:5], v[18:19]
	v_add_f64 v[12:13], v[12:13], -v[20:21]
	v_add_f64 v[20:21], v[6:7], -v[14:15]
	;; [unrolled: 1-line block ×3, first 2 shown]
	v_fmac_f64_e32 v[18:19], s[16:17], v[4:5]
	v_fmac_f64_e32 v[28:29], s[14:15], v[12:13]
	v_add_f64 v[20:21], v[20:21], v[52:53]
	v_fmac_f64_e32 v[18:19], s[18:19], v[12:13]
	v_fmac_f64_e32 v[28:29], s[0:1], v[20:21]
	v_fmac_f64_e32 v[18:19], s[0:1], v[20:21]
	v_add_f64 v[20:21], v[6:7], v[30:31]
	v_add_f64 v[8:9], v[46:47], v[6:7]
	v_fmac_f64_e32 v[46:47], -0.5, v[20:21]
	v_add_f64 v[8:9], v[8:9], v[14:15]
	v_fma_f64 v[20:21], s[16:17], v[12:13], v[46:47]
	v_add_f64 v[6:7], v[14:15], -v[6:7]
	v_add_f64 v[14:15], v[22:23], -v[30:31]
	v_fmac_f64_e32 v[46:47], s[2:3], v[12:13]
	v_fmac_f64_e32 v[20:21], s[14:15], v[4:5]
	v_add_f64 v[6:7], v[6:7], v[14:15]
	v_fmac_f64_e32 v[46:47], s[18:19], v[4:5]
	v_add_f64 v[8:9], v[8:9], v[22:23]
	v_fmac_f64_e32 v[20:21], s[0:1], v[6:7]
	v_fmac_f64_e32 v[46:47], s[0:1], v[6:7]
	v_mul_f64 v[14:15], v[2:3], s[20:21]
	v_mul_f64 v[22:23], v[26:27], s[2:3]
	;; [unrolled: 1-line block ×5, first 2 shown]
	v_fma_f64 v[14:15], v[18:19], s[18:19], -v[14:15]
	v_mul_f64 v[10:11], v[10:11], s[14:15]
	v_fmac_f64_e32 v[22:23], s[0:1], v[20:21]
	v_mul_f64 v[20:21], v[46:47], s[0:1]
	v_mul_f64 v[18:19], v[18:19], s[20:21]
	v_accvgpr_write_b32 a22, v70
	v_accvgpr_write_b32 a18, v66
	;; [unrolled: 1-line block ×3, first 2 shown]
	v_add_f64 v[8:9], v[8:9], v[30:31]
	v_add_f64 v[88:89], v[32:33], v[0:1]
	v_fmac_f64_e32 v[4:5], s[18:19], v[28:29]
	v_fmac_f64_e32 v[6:7], s[0:1], v[26:27]
	v_fma_f64 v[12:13], v[46:47], s[16:17], -v[12:13]
	v_fmac_f64_e32 v[10:11], s[20:21], v[28:29]
	v_fma_f64 v[20:21], v[44:45], s[2:3], -v[20:21]
	v_fma_f64 v[2:3], v[2:3], s[14:15], -v[18:19]
	v_add_f64 v[108:109], v[32:33], -v[0:1]
	v_mul_lo_u16_e32 v0, 10, v56
	s_movk_i32 s0, 0x8c
	v_accvgpr_write_b32 a29, v77
	v_accvgpr_write_b32 a11, v59
	;; [unrolled: 1-line block ×19, first 2 shown]
	v_add_f64 v[92:93], v[38:39], v[4:5]
	v_add_f64 v[96:97], v[50:51], v[6:7]
	;; [unrolled: 1-line block ×9, first 2 shown]
	v_add_f64 v[112:113], v[38:39], -v[4:5]
	v_add_f64 v[120:121], v[50:51], -v[6:7]
	;; [unrolled: 1-line block ×9, first 2 shown]
	v_lshlrev_b32_e32 v218, 4, v0
	v_cmp_gt_u16_e32 vcc, s0, v56
	s_barrier
	ds_write_b128 v218, v[88:91]
	ds_write_b128 v218, v[92:95] offset:16
	ds_write_b128 v218, v[96:99] offset:32
	;; [unrolled: 1-line block ×9, first 2 shown]
	s_waitcnt lgkmcnt(0)
	s_barrier
	s_and_saveexec_b64 s[0:1], vcc
	s_cbranch_execz .LBB0_3
; %bb.2:
	ds_read_b128 v[88:91], v212
	ds_read_b128 v[92:95], v212 offset:2240
	ds_read_b128 v[96:99], v212 offset:4480
	;; [unrolled: 1-line block ×12, first 2 shown]
.LBB0_3:
	s_or_b64 exec, exec, s[0:1]
	s_movk_i32 s0, 0xcd
	v_mul_lo_u16_sdwa v0, v56, s0 dst_sel:DWORD dst_unused:UNUSED_PAD src0_sel:BYTE_0 src1_sel:DWORD
	v_lshrrev_b16_e32 v0, 11, v0
	v_accvgpr_write_b32 a1, v0
	v_mul_lo_u16_e32 v0, 10, v0
	v_sub_u16_e32 v0, v56, v0
	v_and_b32_e32 v0, 0xff, v0
	v_accvgpr_write_b32 a42, v0
	v_mul_u32_u24_e32 v0, 12, v0
	v_lshlrev_b32_e32 v0, 4, v0
	v_mov_b32_e32 v213, v56
	global_load_dwordx4 v[52:55], v0, s[10:11]
	global_load_dwordx4 v[48:51], v0, s[10:11] offset:16
	global_load_dwordx4 v[44:47], v0, s[10:11] offset:32
	global_load_dwordx4 v[40:43], v0, s[10:11] offset:48
	global_load_dwordx4 v[68:71], v0, s[10:11] offset:64
	global_load_dwordx4 v[64:67], v0, s[10:11] offset:80
	global_load_dwordx4 v[60:63], v0, s[10:11] offset:96
	global_load_dwordx4 v[56:59], v0, s[10:11] offset:112
	global_load_dwordx4 v[84:87], v0, s[10:11] offset:128
	global_load_dwordx4 v[80:83], v0, s[10:11] offset:144
	global_load_dwordx4 v[76:79], v0, s[10:11] offset:160
	global_load_dwordx4 v[72:75], v0, s[10:11] offset:176
	s_mov_b32 s17, 0xbfddbe06
	s_mov_b32 s16, 0x4267c47c
	;; [unrolled: 1-line block ×30, first 2 shown]
	s_waitcnt lgkmcnt(0)
	s_barrier
	s_waitcnt vmcnt(11)
	v_mul_f64 v[0:1], v[94:95], v[54:55]
	v_mul_f64 v[160:161], v[92:93], v[54:55]
	s_waitcnt vmcnt(9)
	v_mul_f64 v[4:5], v[102:103], v[46:47]
	s_waitcnt vmcnt(8)
	v_mul_f64 v[6:7], v[106:107], v[42:43]
	v_mul_f64 v[2:3], v[98:99], v[50:51]
	;; [unrolled: 1-line block ×3, first 2 shown]
	v_fma_f64 v[0:1], v[92:93], v[52:53], -v[0:1]
	v_fmac_f64_e32 v[160:161], v[94:95], v[52:53]
	v_fma_f64 v[26:27], v[100:101], v[44:45], -v[4:5]
	v_fma_f64 v[28:29], v[104:105], v[40:41], -v[6:7]
	s_waitcnt vmcnt(1)
	v_mul_f64 v[20:21], v[134:135], v[78:79]
	s_waitcnt vmcnt(0)
	v_mul_f64 v[22:23], v[138:139], v[74:75]
	v_mul_f64 v[184:185], v[136:137], v[74:75]
	;; [unrolled: 1-line block ×3, first 2 shown]
	v_fma_f64 v[4:5], v[132:133], v[76:77], -v[20:21]
	v_fma_f64 v[6:7], v[136:137], v[72:73], -v[22:23]
	v_fmac_f64_e32 v[184:185], v[138:139], v[72:73]
	v_mul_f64 v[178:179], v[128:129], v[82:83]
	v_fma_f64 v[2:3], v[96:97], v[48:49], -v[2:3]
	v_fmac_f64_e32 v[162:163], v[98:99], v[48:49]
	v_fmac_f64_e32 v[180:181], v[134:135], v[76:77]
	v_accvgpr_write_b32 a45, v1
	v_add_f64 v[92:93], v[0:1], -v[6:7]
	v_add_f64 v[94:95], v[160:161], -v[184:185]
	v_accvgpr_write_b32 a65, v5
	v_mul_f64 v[18:19], v[130:131], v[82:83]
	v_fmac_f64_e32 v[178:179], v[130:131], v[80:81]
	v_add_f64 v[130:131], v[0:1], v[6:7]
	v_accvgpr_write_b32 a44, v0
	v_accvgpr_write_b32 a67, v7
	v_add_f64 v[188:189], v[2:3], v[4:5]
	v_add_f64 v[20:21], v[162:163], -v[180:181]
	v_accvgpr_write_b32 a47, v3
	v_accvgpr_write_b32 a64, v4
	v_add_f64 v[24:25], v[2:3], -v[4:5]
	v_mul_f64 v[0:1], v[94:95], s[16:17]
	v_mul_f64 v[4:5], v[92:93], s[16:17]
	;; [unrolled: 1-line block ×3, first 2 shown]
	v_add_f64 v[132:133], v[160:161], v[184:185]
	v_accvgpr_write_b32 a66, v6
	v_accvgpr_write_b32 a46, v2
	v_mul_f64 v[2:3], v[20:21], s[22:23]
	v_mul_f64 v[6:7], v[24:25], s[22:23]
	v_accvgpr_write_b32 a69, v1
	v_accvgpr_write_b32 a73, v5
	v_fmac_f64_e32 v[164:165], v[102:103], v[44:45]
	v_add_f64 v[192:193], v[162:163], v[180:181]
	v_accvgpr_write_b32 a68, v0
	v_fma_f64 v[0:1], s[0:1], v[130:131], v[0:1]
	v_accvgpr_write_b32 a71, v3
	v_accvgpr_write_b32 a72, v4
	v_fma_f64 v[4:5], v[132:133], s[0:1], -v[4:5]
	v_accvgpr_write_b32 a75, v7
	v_accvgpr_write_b32 a70, v2
	v_fma_f64 v[2:3], s[2:3], v[188:189], v[2:3]
	v_accvgpr_write_b32 a74, v6
	v_fma_f64 v[6:7], v[192:193], s[2:3], -v[6:7]
	v_add_f64 v[0:1], v[88:89], v[0:1]
	v_add_f64 v[4:5], v[90:91], v[4:5]
	v_add_f64 v[136:137], v[164:165], -v[178:179]
	v_fma_f64 v[18:19], v[128:129], v[80:81], -v[18:19]
	v_add_f64 v[0:1], v[2:3], v[0:1]
	v_add_f64 v[2:3], v[6:7], v[4:5]
	v_mul_f64 v[4:5], v[136:137], s[28:29]
	v_add_f64 v[196:197], v[26:27], v[18:19]
	v_accvgpr_write_b32 a77, v5
	v_accvgpr_write_b32 a76, v4
	v_fma_f64 v[4:5], s[14:15], v[196:197], v[4:5]
	v_add_f64 v[138:139], v[26:27], -v[18:19]
	v_mul_f64 v[166:167], v[104:105], v[42:43]
	v_mul_f64 v[176:177], v[124:125], v[86:87]
	v_add_f64 v[0:1], v[4:5], v[0:1]
	v_mul_f64 v[4:5], v[138:139], s[28:29]
	v_fmac_f64_e32 v[166:167], v[106:107], v[40:41]
	v_fmac_f64_e32 v[176:177], v[126:127], v[84:85]
	v_add_f64 v[200:201], v[164:165], v[178:179]
	v_accvgpr_write_b32 a79, v5
	v_mul_f64 v[16:17], v[126:127], v[86:87]
	v_accvgpr_write_b32 a78, v4
	v_fma_f64 v[4:5], v[200:201], s[14:15], -v[4:5]
	v_add_f64 v[254:255], v[166:167], -v[176:177]
	v_fma_f64 v[16:17], v[124:125], v[84:85], -v[16:17]
	v_add_f64 v[2:3], v[4:5], v[2:3]
	v_mul_f64 v[4:5], v[254:255], s[26:27]
	v_mul_f64 v[174:175], v[116:117], v[58:59]
	v_add_f64 v[202:203], v[28:29], v[16:17]
	v_accvgpr_write_b32 a81, v5
	v_mul_f64 v[14:15], v[118:119], v[58:59]
	v_fmac_f64_e32 v[174:175], v[118:119], v[56:57]
	v_accvgpr_write_b32 a80, v4
	v_fma_f64 v[4:5], s[20:21], v[202:203], v[4:5]
	v_add_f64 v[118:119], v[28:29], -v[16:17]
	v_mul_f64 v[168:169], v[108:109], v[70:71]
	v_add_f64 v[0:1], v[4:5], v[0:1]
	v_mul_f64 v[4:5], v[118:119], s[26:27]
	v_mul_f64 v[8:9], v[110:111], v[70:71]
	v_fmac_f64_e32 v[168:169], v[110:111], v[68:69]
	v_add_f64 v[206:207], v[166:167], v[176:177]
	v_accvgpr_write_b32 a83, v5
	v_fma_f64 v[8:9], v[108:109], v[68:69], -v[8:9]
	v_accvgpr_write_b32 a82, v4
	v_fma_f64 v[4:5], v[206:207], s[20:21], -v[4:5]
	v_add_f64 v[108:109], v[168:169], -v[174:175]
	v_mul_f64 v[170:171], v[112:113], v[66:67]
	v_mul_f64 v[172:173], v[120:121], v[62:63]
	v_fma_f64 v[14:15], v[116:117], v[56:57], -v[14:15]
	v_add_f64 v[2:3], v[4:5], v[2:3]
	v_mul_f64 v[4:5], v[108:109], s[30:31]
	v_mul_f64 v[10:11], v[114:115], v[66:67]
	;; [unrolled: 1-line block ×3, first 2 shown]
	v_fmac_f64_e32 v[170:171], v[114:115], v[64:65]
	v_fmac_f64_e32 v[172:173], v[122:123], v[60:61]
	v_add_f64 v[216:217], v[8:9], v[14:15]
	v_accvgpr_write_b32 a85, v5
	v_add_f64 v[114:115], v[8:9], -v[14:15]
	v_fma_f64 v[10:11], v[112:113], v[64:65], -v[10:11]
	v_fma_f64 v[12:13], v[120:121], v[60:61], -v[12:13]
	v_accvgpr_write_b32 a84, v4
	v_fma_f64 v[4:5], s[18:19], v[216:217], v[4:5]
	v_add_f64 v[222:223], v[168:169], v[174:175]
	v_mul_f64 v[194:195], v[114:115], s[30:31]
	v_add_f64 v[116:117], v[170:171], -v[172:173]
	v_add_f64 v[0:1], v[4:5], v[0:1]
	v_fma_f64 v[4:5], v[222:223], s[18:19], -v[194:195]
	v_add_f64 v[236:237], v[10:11], v[12:13]
	v_mul_f64 v[198:199], v[116:117], s[34:35]
	v_add_f64 v[190:191], v[10:11], -v[12:13]
	v_add_f64 v[2:3], v[4:5], v[2:3]
	v_fma_f64 v[4:5], s[24:25], v[236:237], v[198:199]
	v_add_f64 v[240:241], v[170:171], v[172:173]
	v_mul_f64 v[204:205], v[190:191], s[34:35]
	v_add_f64 v[140:141], v[4:5], v[0:1]
	v_fma_f64 v[0:1], v[240:241], s[24:25], -v[204:205]
	v_mul_f64 v[208:209], v[94:95], s[22:23]
	v_add_f64 v[142:143], v[0:1], v[2:3]
	v_fma_f64 v[0:1], s[2:3], v[130:131], v[208:209]
	v_mul_f64 v[210:211], v[20:21], s[26:27]
	v_add_f64 v[0:1], v[88:89], v[0:1]
	v_fma_f64 v[2:3], s[20:21], v[188:189], v[210:211]
	v_mul_f64 v[220:221], v[92:93], s[22:23]
	v_add_f64 v[0:1], v[2:3], v[0:1]
	v_fma_f64 v[2:3], v[132:133], s[2:3], -v[220:221]
	v_mul_f64 v[226:227], v[24:25], s[26:27]
	v_add_f64 v[2:3], v[90:91], v[2:3]
	v_fma_f64 v[4:5], v[192:193], s[20:21], -v[226:227]
	v_mul_f64 v[186:187], v[136:137], s[34:35]
	v_add_f64 v[2:3], v[4:5], v[2:3]
	v_fma_f64 v[4:5], s[24:25], v[196:197], v[186:187]
	v_mul_f64 v[228:229], v[138:139], s[34:35]
	v_add_f64 v[0:1], v[4:5], v[0:1]
	v_fma_f64 v[4:5], v[200:201], s[24:25], -v[228:229]
	v_mul_f64 v[224:225], v[254:255], s[38:39]
	v_add_f64 v[2:3], v[4:5], v[2:3]
	v_fma_f64 v[4:5], s[18:19], v[202:203], v[224:225]
	;; [unrolled: 6-line block ×3, first 2 shown]
	v_mul_f64 v[238:239], v[114:115], s[36:37]
	s_mov_b32 s17, 0x3fddbe06
	v_add_f64 v[0:1], v[4:5], v[0:1]
	v_fma_f64 v[4:5], v[222:223], s[14:15], -v[238:239]
	v_mul_f64 v[234:235], v[116:117], s[16:17]
	v_add_f64 v[2:3], v[4:5], v[2:3]
	v_fma_f64 v[4:5], s[0:1], v[236:237], v[234:235]
	v_mul_f64 v[242:243], v[190:191], s[16:17]
	v_add_f64 v[144:145], v[4:5], v[0:1]
	v_fma_f64 v[0:1], v[240:241], s[0:1], -v[242:243]
	v_mul_f64 v[244:245], v[94:95], s[28:29]
	v_add_f64 v[146:147], v[0:1], v[2:3]
	v_fma_f64 v[0:1], s[14:15], v[130:131], v[244:245]
	v_add_f64 v[2:3], v[88:89], v[0:1]
	v_mul_f64 v[0:1], v[20:21], s[34:35]
	v_fma_f64 v[4:5], s[24:25], v[188:189], v[0:1]
	v_accvgpr_write_b32 a53, v9
	v_add_f64 v[6:7], v[4:5], v[2:3]
	v_mul_f64 v[4:5], v[92:93], s[28:29]
	v_accvgpr_write_b32 a52, v8
	v_accvgpr_write_b32 a55, v11
	v_fma_f64 v[2:3], v[132:133], s[14:15], -v[4:5]
	v_mul_f64 v[8:9], v[24:25], s[34:35]
	v_accvgpr_write_b32 a54, v10
	v_add_f64 v[2:3], v[90:91], v[2:3]
	v_fma_f64 v[10:11], v[192:193], s[24:25], -v[8:9]
	v_accvgpr_write_b32 a57, v13
	v_add_f64 v[10:11], v[10:11], v[2:3]
	v_mul_f64 v[2:3], v[136:137], s[40:41]
	v_accvgpr_write_b32 a59, v15
	v_accvgpr_write_b32 a56, v12
	v_fma_f64 v[12:13], s[20:21], v[196:197], v[2:3]
	v_accvgpr_write_b32 a58, v14
	v_add_f64 v[14:15], v[12:13], v[6:7]
	v_mul_f64 v[12:13], v[138:139], s[40:41]
	v_fma_f64 v[6:7], v[200:201], s[20:21], -v[12:13]
	v_accvgpr_write_b32 a61, v17
	v_add_f64 v[10:11], v[6:7], v[10:11]
	v_mul_f64 v[6:7], v[254:255], s[16:17]
	v_accvgpr_write_b32 a60, v16
	v_fma_f64 v[16:17], s[0:1], v[202:203], v[6:7]
	v_accvgpr_write_b32 a63, v19
	v_add_f64 v[14:15], v[16:17], v[14:15]
	v_mul_f64 v[16:17], v[118:119], s[16:17]
	v_accvgpr_write_b32 a62, v18
	v_fma_f64 v[18:19], v[206:207], s[0:1], -v[16:17]
	v_add_f64 v[22:23], v[18:19], v[10:11]
	v_mul_f64 v[10:11], v[108:109], s[22:23]
	v_accvgpr_write_b32 a49, v27
	v_fma_f64 v[18:19], s[2:3], v[216:217], v[10:11]
	v_accvgpr_write_b32 a48, v26
	v_add_f64 v[26:27], v[18:19], v[14:15]
	v_mul_f64 v[18:19], v[114:115], s[22:23]
	v_accvgpr_write_b32 a51, v29
	v_fma_f64 v[14:15], v[222:223], s[2:3], -v[18:19]
	v_accvgpr_write_b32 a50, v28
	v_add_f64 v[28:29], v[14:15], v[22:23]
	v_mul_f64 v[14:15], v[116:117], s[30:31]
	v_fma_f64 v[22:23], s[18:19], v[236:237], v[14:15]
	v_add_f64 v[148:149], v[22:23], v[26:27]
	v_mul_f64 v[22:23], v[190:191], s[30:31]
	v_fma_f64 v[26:27], v[240:241], s[18:19], -v[22:23]
	v_add_f64 v[150:151], v[26:27], v[28:29]
	v_mul_f64 v[26:27], v[94:95], s[26:27]
	v_fma_f64 v[28:29], s[20:21], v[130:131], v[26:27]
	v_add_f64 v[30:31], v[88:89], v[28:29]
	v_mul_f64 v[28:29], v[20:21], s[38:39]
	v_fma_f64 v[32:33], s[18:19], v[188:189], v[28:29]
	v_mul_f64 v[36:37], v[92:93], s[26:27]
	v_add_f64 v[32:33], v[32:33], v[30:31]
	v_fma_f64 v[30:31], v[132:133], s[20:21], -v[36:37]
	v_mul_f64 v[38:39], v[24:25], s[38:39]
	v_add_f64 v[30:31], v[90:91], v[30:31]
	v_fma_f64 v[34:35], v[192:193], s[18:19], -v[38:39]
	v_add_f64 v[34:35], v[34:35], v[30:31]
	v_mul_f64 v[30:31], v[136:137], s[16:17]
	v_fma_f64 v[96:97], s[0:1], v[196:197], v[30:31]
	v_mul_f64 v[246:247], v[138:139], s[16:17]
	v_add_f64 v[96:97], v[96:97], v[32:33]
	v_fma_f64 v[32:33], v[200:201], s[0:1], -v[246:247]
	v_add_f64 v[34:35], v[32:33], v[34:35]
	v_mul_f64 v[32:33], v[254:255], s[28:29]
	v_fma_f64 v[98:99], s[14:15], v[202:203], v[32:33]
	v_mul_f64 v[248:249], v[118:119], s[28:29]
	v_add_f64 v[96:97], v[98:99], v[96:97]
	v_fma_f64 v[98:99], v[206:207], s[14:15], -v[248:249]
	s_mov_b32 s29, 0x3fcea1e5
	s_mov_b32 s28, s34
	v_add_f64 v[98:99], v[98:99], v[34:35]
	v_mul_f64 v[34:35], v[108:109], s[28:29]
	v_fma_f64 v[100:101], s[24:25], v[216:217], v[34:35]
	v_mul_f64 v[250:251], v[114:115], s[28:29]
	s_mov_b32 s39, 0x3fea55e2
	s_mov_b32 s38, s22
	v_add_f64 v[96:97], v[100:101], v[96:97]
	v_fma_f64 v[100:101], v[222:223], s[24:25], -v[250:251]
	v_mul_f64 v[214:215], v[116:117], s[38:39]
	v_add_f64 v[98:99], v[100:101], v[98:99]
	v_fma_f64 v[100:101], s[2:3], v[236:237], v[214:215]
	v_mul_f64 v[252:253], v[190:191], s[38:39]
	v_add_f64 v[152:153], v[100:101], v[96:97]
	v_fma_f64 v[96:97], v[240:241], s[2:3], -v[252:253]
	v_mul_f64 v[120:121], v[94:95], s[30:31]
	v_add_f64 v[154:155], v[96:97], v[98:99]
	v_fma_f64 v[96:97], s[18:19], v[130:131], v[120:121]
	v_mul_f64 v[122:123], v[20:21], s[36:37]
	v_add_f64 v[96:97], v[88:89], v[96:97]
	v_fma_f64 v[98:99], s[14:15], v[188:189], v[122:123]
	v_mul_f64 v[182:183], v[92:93], s[30:31]
	v_add_f64 v[96:97], v[98:99], v[96:97]
	v_fma_f64 v[98:99], v[132:133], s[18:19], -v[182:183]
	v_add_f64 v[100:101], v[90:91], v[98:99]
	v_mul_f64 v[98:99], v[24:25], s[36:37]
	v_fma_f64 v[102:103], v[192:193], s[14:15], -v[98:99]
	v_mul_f64 v[124:125], v[136:137], s[22:23]
	v_add_f64 v[102:103], v[102:103], v[100:101]
	v_fma_f64 v[100:101], s[2:3], v[196:197], v[124:125]
	v_add_f64 v[96:97], v[100:101], v[96:97]
	v_mul_f64 v[100:101], v[138:139], s[22:23]
	v_fma_f64 v[104:105], v[200:201], s[2:3], -v[100:101]
	v_mul_f64 v[126:127], v[254:255], s[28:29]
	v_add_f64 v[104:105], v[104:105], v[102:103]
	v_fma_f64 v[102:103], s[24:25], v[202:203], v[126:127]
	;; [unrolled: 6-line block ×3, first 2 shown]
	v_add_f64 v[110:111], v[104:105], v[96:97]
	v_mul_f64 v[104:105], v[114:115], s[16:17]
	v_fma_f64 v[96:97], v[222:223], s[0:1], -v[104:105]
	v_add_f64 v[112:113], v[96:97], v[106:107]
	v_mul_f64 v[96:97], v[116:117], s[26:27]
	v_fma_f64 v[106:107], s[20:21], v[236:237], v[96:97]
	v_add_f64 v[156:157], v[106:107], v[110:111]
	v_mul_f64 v[106:107], v[190:191], s[26:27]
	v_fma_f64 v[110:111], v[240:241], s[20:21], -v[106:107]
	v_mul_f64 v[94:95], v[94:95], s[34:35]
	v_add_f64 v[158:159], v[110:111], v[112:113]
	v_fma_f64 v[110:111], s[24:25], v[130:131], v[94:95]
	v_mul_f64 v[20:21], v[20:21], s[16:17]
	v_mul_f64 v[134:135], v[92:93], s[34:35]
	v_add_f64 v[110:111], v[88:89], v[110:111]
	v_fma_f64 v[112:113], s[0:1], v[188:189], v[20:21]
	v_fma_f64 v[92:93], v[132:133], s[24:25], -v[134:135]
	v_mul_f64 v[24:25], v[24:25], s[16:17]
	v_add_f64 v[110:111], v[112:113], v[110:111]
	v_add_f64 v[92:93], v[90:91], v[92:93]
	v_fma_f64 v[112:113], v[192:193], s[0:1], -v[24:25]
	v_add_f64 v[112:113], v[112:113], v[92:93]
	v_mul_f64 v[92:93], v[136:137], s[30:31]
	v_fma_f64 v[136:137], s[18:19], v[196:197], v[92:93]
	v_add_f64 v[136:137], v[136:137], v[110:111]
	v_mul_f64 v[110:111], v[138:139], s[30:31]
	v_fma_f64 v[138:139], v[200:201], s[18:19], -v[110:111]
	v_mul_f64 v[254:255], v[254:255], s[38:39]
	v_add_f64 v[138:139], v[138:139], v[112:113]
	v_fma_f64 v[112:113], s[2:3], v[202:203], v[254:255]
	v_add_f64 v[136:137], v[112:113], v[136:137]
	v_mul_f64 v[112:113], v[118:119], s[38:39]
	v_fma_f64 v[118:119], v[206:207], s[2:3], -v[112:113]
	v_add_f64 v[138:139], v[118:119], v[138:139]
	v_mul_f64 v[118:119], v[108:109], s[26:27]
	v_fma_f64 v[108:109], s[20:21], v[216:217], v[118:119]
	v_mul_f64 v[114:115], v[114:115], s[26:27]
	v_add_f64 v[136:137], v[108:109], v[136:137]
	v_fma_f64 v[108:109], v[222:223], s[20:21], -v[114:115]
	v_add_f64 v[138:139], v[108:109], v[138:139]
	v_mul_f64 v[108:109], v[116:117], s[36:37]
	v_mul_f64 v[116:117], v[190:191], s[36:37]
	v_fma_f64 v[190:191], s[14:15], v[236:237], v[108:109]
	v_add_f64 v[136:137], v[190:191], v[136:137]
	v_fma_f64 v[190:191], v[240:241], s[14:15], -v[116:117]
	v_add_f64 v[138:139], v[190:191], v[138:139]
	s_and_saveexec_b64 s[16:17], vcc
	s_cbranch_execz .LBB0_5
; %bb.4:
	v_mul_f64 v[190:191], v[240:241], s[14:15]
	v_add_f64 v[116:117], v[116:117], v[190:191]
	v_mul_f64 v[190:191], v[222:223], s[20:21]
	v_add_f64 v[114:115], v[114:115], v[190:191]
	;; [unrolled: 2-line block ×6, first 2 shown]
	v_add_f64 v[134:135], v[90:91], v[134:135]
	v_add_f64 v[24:25], v[24:25], v[134:135]
	v_mul_f64 v[134:135], v[196:197], s[18:19]
	v_add_f64 v[92:93], v[134:135], -v[92:93]
	v_mul_f64 v[134:135], v[188:189], s[0:1]
	v_add_f64 v[110:111], v[110:111], v[24:25]
	v_add_f64 v[20:21], v[134:135], -v[20:21]
	v_mul_f64 v[134:135], v[130:131], s[24:25]
	v_add_f64 v[110:111], v[112:113], v[110:111]
	v_add_f64 v[94:95], v[134:135], -v[94:95]
	v_add_f64 v[110:111], v[114:115], v[110:111]
	v_add_f64 v[94:95], v[88:89], v[94:95]
	;; [unrolled: 1-line block ×4, first 2 shown]
	v_mul_f64 v[116:117], v[240:241], s[20:21]
	v_add_f64 v[106:107], v[106:107], v[116:117]
	v_mul_f64 v[116:117], v[222:223], s[0:1]
	v_add_f64 v[104:105], v[104:105], v[116:117]
	v_mul_f64 v[116:117], v[206:207], s[24:25]
	v_mul_f64 v[110:111], v[132:133], s[18:19]
	v_add_f64 v[102:103], v[102:103], v[116:117]
	v_mul_f64 v[116:117], v[200:201], s[2:3]
	v_add_f64 v[100:101], v[100:101], v[116:117]
	;; [unrolled: 2-line block ×3, first 2 shown]
	v_add_f64 v[98:99], v[98:99], v[116:117]
	v_add_f64 v[110:111], v[90:91], v[110:111]
	v_mul_f64 v[114:115], v[236:237], s[14:15]
	v_add_f64 v[98:99], v[98:99], v[110:111]
	v_add_f64 v[108:109], v[114:115], -v[108:109]
	v_mul_f64 v[114:115], v[216:217], s[20:21]
	v_add_f64 v[98:99], v[100:101], v[98:99]
	v_add_f64 v[114:115], v[114:115], -v[118:119]
	;; [unrolled: 3-line block ×3, first 2 shown]
	v_add_f64 v[20:21], v[92:93], v[20:21]
	v_add_f64 v[98:99], v[104:105], v[98:99]
	v_mul_f64 v[104:105], v[236:237], s[20:21]
	v_add_f64 v[20:21], v[118:119], v[20:21]
	v_add_f64 v[96:97], v[104:105], -v[96:97]
	v_mul_f64 v[104:105], v[216:217], s[0:1]
	v_add_f64 v[20:21], v[114:115], v[20:21]
	v_add_f64 v[104:105], v[104:105], -v[128:129]
	v_mul_f64 v[128:129], v[202:203], s[24:25]
	v_add_f64 v[92:93], v[108:109], v[20:21]
	v_mul_f64 v[108:109], v[130:131], s[18:19]
	v_add_f64 v[126:127], v[128:129], -v[126:127]
	v_mul_f64 v[128:129], v[196:197], s[2:3]
	v_add_f64 v[124:125], v[128:129], -v[124:125]
	v_mul_f64 v[128:129], v[188:189], s[14:15]
	v_add_f64 v[108:109], v[108:109], -v[120:121]
	v_add_f64 v[122:123], v[128:129], -v[122:123]
	v_add_f64 v[108:109], v[88:89], v[108:109]
	v_add_f64 v[108:109], v[122:123], v[108:109]
	v_mul_f64 v[20:21], v[132:133], s[20:21]
	v_add_f64 v[108:109], v[124:125], v[108:109]
	v_mul_f64 v[118:119], v[132:133], s[14:15]
	v_mul_f64 v[182:183], v[192:193], s[18:19]
	v_add_f64 v[108:109], v[126:127], v[108:109]
	v_add_f64 v[20:21], v[36:37], v[20:21]
	v_mul_f64 v[112:113], v[132:133], s[0:1]
	v_mul_f64 v[190:191], v[132:133], s[2:3]
	;; [unrolled: 1-line block ×7, first 2 shown]
	v_add_f64 v[104:105], v[104:105], v[108:109]
	v_mul_f64 v[188:189], v[200:201], s[0:1]
	v_add_f64 v[38:39], v[38:39], v[182:183]
	v_add_f64 v[20:21], v[90:91], v[20:21]
	;; [unrolled: 1-line block ×3, first 2 shown]
	v_mul_f64 v[122:123], v[200:201], s[14:15]
	v_mul_f64 v[126:127], v[200:201], s[24:25]
	v_add_f64 v[96:97], v[96:97], v[104:105]
	v_mul_f64 v[104:105], v[200:201], s[20:21]
	v_mul_f64 v[200:201], v[206:207], s[14:15]
	v_add_f64 v[188:189], v[246:247], v[188:189]
	v_add_f64 v[20:21], v[38:39], v[20:21]
	;; [unrolled: 1-line block ×4, first 2 shown]
	v_mul_f64 v[254:255], v[130:131], s[14:15]
	v_mul_f64 v[120:121], v[196:197], s[14:15]
	;; [unrolled: 1-line block ×4, first 2 shown]
	v_add_f64 v[98:99], v[106:107], v[98:99]
	v_mul_f64 v[106:107], v[196:197], s[0:1]
	v_mul_f64 v[196:197], v[222:223], s[24:25]
	v_add_f64 v[200:201], v[248:249], v[200:201]
	v_add_f64 v[20:21], v[188:189], v[20:21]
	;; [unrolled: 1-line block ×7, first 2 shown]
	v_add_f64 v[12:13], v[254:255], -v[244:245]
	v_mul_f64 v[114:115], v[130:131], s[20:21]
	v_add_f64 v[20:21], v[196:197], v[20:21]
	v_mul_f64 v[196:197], v[236:237], s[2:3]
	v_add_f64 v[0:1], v[102:103], -v[0:1]
	v_add_f64 v[12:13], v[88:89], v[12:13]
	v_mul_f64 v[248:249], v[202:203], s[20:21]
	v_mul_f64 v[246:247], v[206:207], s[20:21]
	;; [unrolled: 1-line block ×7, first 2 shown]
	v_add_f64 v[196:197], v[196:197], -v[214:215]
	v_mul_f64 v[214:215], v[216:217], s[24:25]
	v_add_f64 v[30:31], v[106:107], -v[30:31]
	v_mul_f64 v[106:107], v[236:237], s[24:25]
	;; [unrolled: 2-line block ×3, first 2 shown]
	v_mul_f64 v[236:237], v[236:237], s[18:19]
	v_add_f64 v[2:3], v[108:109], -v[2:3]
	v_add_f64 v[0:1], v[0:1], v[12:13]
	v_mul_f64 v[24:25], v[130:131], s[0:1]
	v_mul_f64 v[134:135], v[130:131], s[2:3]
	;; [unrolled: 1-line block ×7, first 2 shown]
	v_add_f64 v[34:35], v[214:215], -v[34:35]
	v_mul_f64 v[214:215], v[216:217], s[14:15]
	v_add_f64 v[32:33], v[202:203], -v[32:33]
	v_mul_f64 v[202:203], v[222:223], s[14:15]
	v_mul_f64 v[216:217], v[216:217], s[2:3]
	;; [unrolled: 1-line block ×3, first 2 shown]
	v_add_f64 v[28:29], v[132:133], -v[28:29]
	v_add_f64 v[26:27], v[88:89], v[26:27]
	v_add_f64 v[16:17], v[16:17], v[206:207]
	v_add_f64 v[8:9], v[236:237], -v[14:15]
	v_add_f64 v[6:7], v[38:39], -v[6:7]
	v_add_f64 v[0:1], v[2:3], v[0:1]
	v_add_f64 v[14:15], v[220:221], v[190:191]
	;; [unrolled: 1-line block ×6, first 2 shown]
	v_add_f64 v[10:11], v[216:217], -v[10:11]
	v_add_f64 v[0:1], v[6:7], v[0:1]
	v_add_f64 v[12:13], v[226:227], v[100:101]
	;; [unrolled: 1-line block ×3, first 2 shown]
	v_add_f64 v[16:17], v[134:135], -v[208:209]
	v_add_f64 v[28:29], v[192:193], v[20:21]
	v_add_f64 v[20:21], v[30:31], v[26:27]
	;; [unrolled: 1-line block ×6, first 2 shown]
	v_add_f64 v[14:15], v[110:111], -v[210:211]
	v_add_f64 v[16:17], v[88:89], v[16:17]
	v_accvgpr_read_b32 v18, a72
	v_add_f64 v[20:21], v[32:33], v[20:21]
	v_add_f64 v[2:3], v[8:9], v[0:1]
	;; [unrolled: 1-line block ×4, first 2 shown]
	v_add_f64 v[12:13], v[124:125], -v[186:187]
	v_add_f64 v[14:15], v[14:15], v[16:17]
	v_accvgpr_read_b32 v16, a74
	v_accvgpr_read_b32 v19, a73
	v_mul_f64 v[132:133], v[240:241], s[24:25]
	v_mul_f64 v[250:251], v[240:241], s[0:1]
	;; [unrolled: 1-line block ×3, first 2 shown]
	v_add_f64 v[20:21], v[34:35], v[20:21]
	v_add_f64 v[8:9], v[8:9], v[10:11]
	v_add_f64 v[10:11], v[182:183], -v[224:225]
	v_add_f64 v[12:13], v[12:13], v[14:15]
	v_accvgpr_read_b32 v14, a78
	v_accvgpr_read_b32 v17, a75
	v_add_f64 v[18:19], v[18:19], v[112:113]
	v_add_f64 v[26:27], v[196:197], v[20:21]
	;; [unrolled: 1-line block ×5, first 2 shown]
	v_accvgpr_read_b32 v12, a82
	v_accvgpr_read_b32 v15, a79
	v_add_f64 v[16:17], v[16:17], v[130:131]
	v_add_f64 v[18:19], v[90:91], v[18:19]
	;; [unrolled: 1-line block ×5, first 2 shown]
	v_accvgpr_read_b32 v13, a83
	v_add_f64 v[14:15], v[14:15], v[122:123]
	v_add_f64 v[16:17], v[16:17], v[18:19]
	v_accvgpr_read_b32 v20, a68
	v_add_f64 v[8:9], v[0:1], v[6:7]
	v_add_f64 v[6:7], v[214:215], -v[230:231]
	v_add_f64 v[12:13], v[12:13], v[246:247]
	v_add_f64 v[14:15], v[14:15], v[16:17]
	v_accvgpr_read_b32 v18, a70
	v_accvgpr_read_b32 v21, a69
	v_add_f64 v[0:1], v[114:115], -v[234:235]
	v_add_f64 v[6:7], v[6:7], v[10:11]
	v_add_f64 v[10:11], v[194:195], v[200:201]
	v_add_f64 v[12:13], v[12:13], v[14:15]
	v_accvgpr_read_b32 v16, a76
	v_accvgpr_read_b32 v19, a71
	v_add_f64 v[20:21], v[24:25], -v[20:21]
	v_add_f64 v[6:7], v[0:1], v[6:7]
	v_add_f64 v[0:1], v[204:205], v[132:133]
	v_add_f64 v[10:11], v[10:11], v[12:13]
	v_accvgpr_read_b32 v14, a80
	v_accvgpr_read_b32 v17, a77
	v_add_f64 v[18:19], v[116:117], -v[18:19]
	v_add_f64 v[20:21], v[88:89], v[20:21]
	v_add_f64 v[12:13], v[0:1], v[10:11]
	v_accvgpr_read_b32 v10, a84
	v_accvgpr_read_b32 v15, a81
	v_add_f64 v[16:17], v[120:121], -v[16:17]
	v_add_f64 v[18:19], v[18:19], v[20:21]
	v_accvgpr_read_b32 v11, a85
	v_add_f64 v[14:15], v[248:249], -v[14:15]
	v_add_f64 v[16:17], v[16:17], v[18:19]
	v_add_f64 v[10:11], v[188:189], -v[10:11]
	v_add_f64 v[14:15], v[14:15], v[16:17]
	v_add_f64 v[0:1], v[106:107], -v[198:199]
	v_add_f64 v[10:11], v[10:11], v[14:15]
	v_add_f64 v[10:11], v[0:1], v[10:11]
	v_add_f64 v[0:1], v[90:91], v[160:161]
	;; [unrolled: 1-line block ×13, first 2 shown]
	v_accvgpr_read_b32 v0, a44
	v_accvgpr_read_b32 v1, a45
	;; [unrolled: 1-line block ×3, first 2 shown]
	v_add_f64 v[0:1], v[88:89], v[0:1]
	v_accvgpr_read_b32 v15, a47
	v_add_f64 v[0:1], v[0:1], v[14:15]
	v_accvgpr_read_b32 v14, a48
	v_accvgpr_read_b32 v15, a49
	v_add_f64 v[0:1], v[0:1], v[14:15]
	v_accvgpr_read_b32 v14, a50
	;; [unrolled: 3-line block ×11, first 2 shown]
	v_mul_u32_u24_e32 v0, 0x82, v0
	v_accvgpr_read_b32 v1, a42
	v_add_lshl_u32 v0, v0, v1, 4
	ds_write_b128 v0, v[14:17]
	ds_write_b128 v0, v[10:13] offset:160
	ds_write_b128 v0, v[6:9] offset:320
	ds_write_b128 v0, v[2:5] offset:480
	ds_write_b128 v0, v[26:29] offset:640
	ds_write_b128 v0, v[96:99] offset:800
	ds_write_b128 v0, v[92:95] offset:960
	ds_write_b128 v0, v[136:139] offset:1120
	ds_write_b128 v0, v[156:159] offset:1280
	ds_write_b128 v0, v[152:155] offset:1440
	ds_write_b128 v0, v[148:151] offset:1600
	ds_write_b128 v0, v[144:147] offset:1760
	ds_write_b128 v0, v[140:143] offset:1920
.LBB0_5:
	s_or_b64 exec, exec, s[16:17]
	s_waitcnt lgkmcnt(0)
	s_barrier
	ds_read_b128 v[160:163], v212
	ds_read_b128 v[184:187], v212 offset:4160
	ds_read_b128 v[180:183], v212 offset:8320
	;; [unrolled: 1-line block ×6, first 2 shown]
	s_movk_i32 s0, 0x4e
	v_mov_b32_e32 v223, v213
	v_cmp_gt_u16_e64 s[0:1], s0, v223
                                        ; implicit-def: $vgpr188_vgpr189
	s_and_saveexec_b64 s[2:3], s[0:1]
	s_cbranch_execz .LBB0_7
; %bb.6:
	ds_read_b128 v[136:139], v212 offset:2912
	ds_read_b128 v[156:159], v212 offset:7072
	;; [unrolled: 1-line block ×7, first 2 shown]
.LBB0_7:
	s_or_b64 exec, exec, s[2:3]
	s_movk_i32 s2, 0x82
	v_add_u32_e32 v0, 0xffffff7e, v223
	v_cmp_gt_u16_e64 s[2:3], s2, v223
	v_mov_b32_e32 v193, 0
	s_mov_b32 s14, 0x37e14327
	v_cndmask_b32_e64 v194, v0, v223, s[2:3]
	v_mul_hi_i32_i24_e32 v1, 0x60, v194
	v_mul_i32_i24_e32 v0, 0x60, v194
	v_lshl_add_u64 v[0:1], s[10:11], 0, v[0:1]
	global_load_dwordx4 v[124:127], v[0:1], off offset:1920
	global_load_dwordx4 v[120:123], v[0:1], off offset:1936
	;; [unrolled: 1-line block ×6, first 2 shown]
	v_add_u32_e32 v0, 0xb6, v223
	s_movk_i32 s2, 0xfc1
	v_mul_u32_u24_sdwa v1, v0, s2 dst_sel:DWORD dst_unused:UNUSED_PAD src0_sel:WORD_0 src1_sel:DWORD
	v_lshrrev_b32_e32 v1, 19, v1
	v_mul_lo_u16_e32 v1, 0x82, v1
	v_sub_u16_e32 v195, v0, v1
	v_mul_lo_u16_e32 v192, 0x60, v195
	v_lshl_add_u64 v[0:1], s[10:11], 0, v[192:193]
	global_load_dwordx4 v[102:105], v[0:1], off offset:1920
	global_load_dwordx4 v[196:199], v[0:1], off offset:1936
	global_load_dwordx4 v[106:109], v[0:1], off offset:1952
	global_load_dwordx4 v[88:91], v[0:1], off offset:1968
	global_load_dwordx4 v[200:203], v[0:1], off offset:1984
	global_load_dwordx4 v[204:207], v[0:1], off offset:2000
	s_mov_b32 s2, 0x36b3c0b5
	s_mov_b32 s18, 0xe976ee23
	;; [unrolled: 1-line block ×19, first 2 shown]
	s_waitcnt lgkmcnt(0)
	s_barrier
	s_waitcnt vmcnt(11)
	v_mul_f64 v[0:1], v[186:187], v[126:127]
	s_waitcnt vmcnt(10)
	v_mul_f64 v[4:5], v[182:183], v[122:123]
	v_mul_f64 v[2:3], v[184:185], v[126:127]
	;; [unrolled: 1-line block ×3, first 2 shown]
	s_waitcnt vmcnt(7)
	v_mul_f64 v[16:17], v[170:171], v[134:135]
	s_waitcnt vmcnt(6)
	v_mul_f64 v[20:21], v[166:167], v[130:131]
	v_mul_f64 v[8:9], v[178:179], v[118:119]
	;; [unrolled: 1-line block ×7, first 2 shown]
	v_fma_f64 v[0:1], v[184:185], v[124:125], -v[0:1]
	v_fma_f64 v[4:5], v[180:181], v[120:121], -v[4:5]
	;; [unrolled: 1-line block ×4, first 2 shown]
	v_fmac_f64_e32 v[2:3], v[186:187], v[124:125]
	v_fmac_f64_e32 v[6:7], v[182:183], v[120:121]
	v_fma_f64 v[8:9], v[176:177], v[116:117], -v[8:9]
	v_fmac_f64_e32 v[10:11], v[178:179], v[116:117]
	v_fma_f64 v[12:13], v[172:173], v[112:113], -v[12:13]
	v_fmac_f64_e32 v[14:15], v[174:175], v[112:113]
	v_fmac_f64_e32 v[18:19], v[170:171], v[132:133]
	;; [unrolled: 1-line block ×3, first 2 shown]
	v_add_f64 v[24:25], v[0:1], v[20:21]
	v_add_f64 v[0:1], v[0:1], -v[20:21]
	v_add_f64 v[20:21], v[4:5], v[16:17]
	v_add_f64 v[26:27], v[2:3], v[22:23]
	v_add_f64 v[2:3], v[2:3], -v[22:23]
	v_add_f64 v[22:23], v[6:7], v[18:19]
	v_add_f64 v[4:5], v[4:5], -v[16:17]
	v_add_f64 v[6:7], v[6:7], -v[18:19]
	v_add_f64 v[16:17], v[8:9], v[12:13]
	v_add_f64 v[18:19], v[10:11], v[14:15]
	v_add_f64 v[8:9], v[12:13], -v[8:9]
	v_add_f64 v[10:11], v[14:15], -v[10:11]
	s_waitcnt vmcnt(5)
	v_mul_f64 v[12:13], v[158:159], v[104:105]
	v_mul_f64 v[14:15], v[156:157], v[104:105]
	s_waitcnt vmcnt(4)
	v_mul_f64 v[28:29], v[154:155], v[198:199]
	v_add_f64 v[38:39], v[20:21], v[24:25]
	v_accvgpr_write_b32 a56, v102
	s_waitcnt vmcnt(3)
	v_mul_f64 v[30:31], v[150:151], v[108:109]
	v_fma_f64 v[12:13], v[156:157], v[102:103], -v[12:13]
	v_accvgpr_write_b32 a57, v103
	v_accvgpr_write_b32 a58, v104
	;; [unrolled: 1-line block ×3, first 2 shown]
	v_fmac_f64_e32 v[14:15], v[158:159], v[102:103]
	v_fma_f64 v[102:103], v[152:153], v[196:197], -v[28:29]
	v_add_f64 v[28:29], v[22:23], v[26:27]
	v_add_f64 v[38:39], v[16:17], v[38:39]
	v_mul_f64 v[94:95], v[148:149], v[108:109]
	s_waitcnt vmcnt(2)
	v_mul_f64 v[32:33], v[146:147], v[90:91]
	v_mul_f64 v[96:97], v[144:145], v[90:91]
	s_waitcnt vmcnt(1)
	v_mul_f64 v[34:35], v[142:143], v[202:203]
	s_waitcnt vmcnt(0)
	v_mul_f64 v[36:37], v[190:191], v[206:207]
	v_fma_f64 v[104:105], v[148:149], v[106:107], -v[30:31]
	v_accvgpr_write_b32 a48, v106
	v_accvgpr_write_b32 a44, v88
	v_add_f64 v[30:31], v[20:21], -v[24:25]
	v_add_f64 v[24:25], v[24:25], -v[16:17]
	v_add_f64 v[20:21], v[16:17], -v[20:21]
	v_add_f64 v[28:29], v[18:19], v[28:29]
	v_add_f64 v[16:17], v[160:161], v[38:39]
	v_accvgpr_write_b32 a49, v107
	v_accvgpr_write_b32 a50, v108
	v_accvgpr_write_b32 a51, v109
	v_fmac_f64_e32 v[94:95], v[150:151], v[106:107]
	v_fma_f64 v[106:107], v[144:145], v[88:89], -v[32:33]
	v_accvgpr_write_b32 a45, v89
	v_accvgpr_write_b32 a46, v90
	;; [unrolled: 1-line block ×3, first 2 shown]
	v_fmac_f64_e32 v[96:97], v[146:147], v[88:89]
	v_fma_f64 v[108:109], v[140:141], v[200:201], -v[34:35]
	v_fma_f64 v[110:111], v[188:189], v[204:205], -v[36:37]
	v_add_f64 v[32:33], v[22:23], -v[26:27]
	v_add_f64 v[26:27], v[26:27], -v[18:19]
	;; [unrolled: 1-line block ×3, first 2 shown]
	v_add_f64 v[34:35], v[8:9], v[4:5]
	v_add_f64 v[36:37], v[10:11], v[6:7]
	v_add_f64 v[88:89], v[8:9], -v[4:5]
	v_add_f64 v[90:91], v[10:11], -v[6:7]
	;; [unrolled: 1-line block ×3, first 2 shown]
	v_add_f64 v[18:19], v[162:163], v[28:29]
	v_mov_b64_e32 v[144:145], v[16:17]
	v_mul_f64 v[98:99], v[140:141], v[202:203]
	v_add_f64 v[8:9], v[0:1], -v[8:9]
	v_add_f64 v[10:11], v[2:3], -v[10:11]
	;; [unrolled: 1-line block ×3, first 2 shown]
	v_add_f64 v[0:1], v[34:35], v[0:1]
	v_add_f64 v[2:3], v[36:37], v[2:3]
	v_mul_f64 v[24:25], v[24:25], s[14:15]
	v_mul_f64 v[26:27], v[26:27], s[14:15]
	;; [unrolled: 1-line block ×7, first 2 shown]
	v_fmac_f64_e32 v[144:145], s[20:21], v[38:39]
	v_mov_b64_e32 v[38:39], v[18:19]
	v_fmac_f64_e32 v[98:99], v[142:143], v[200:201]
	v_mul_f64 v[142:143], v[6:7], s[16:17]
	v_fmac_f64_e32 v[38:39], s[20:21], v[28:29]
	v_fma_f64 v[28:29], v[30:31], s[22:23], -v[34:35]
	v_fma_f64 v[34:35], v[32:33], s[22:23], -v[36:37]
	;; [unrolled: 1-line block ×3, first 2 shown]
	v_fmac_f64_e32 v[24:25], s[2:3], v[20:21]
	v_fma_f64 v[20:21], v[32:33], s[24:25], -v[26:27]
	v_fmac_f64_e32 v[26:27], s[2:3], v[22:23]
	v_fma_f64 v[4:5], v[4:5], s[16:17], -v[140:141]
	;; [unrolled: 2-line block ×3, first 2 shown]
	v_mul_f64 v[92:93], v[152:153], v[198:199]
	v_mul_f64 v[100:101], v[188:189], v[206:207]
	v_fma_f64 v[6:7], v[6:7], s[16:17], -v[88:89]
	v_fmac_f64_e32 v[88:89], s[26:27], v[10:11]
	v_fma_f64 v[10:11], v[10:11], s[30:31], -v[142:143]
	v_add_f64 v[142:143], v[26:27], v[38:39]
	v_add_f64 v[34:35], v[34:35], v[38:39]
	;; [unrolled: 1-line block ×3, first 2 shown]
	v_fmac_f64_e32 v[8:9], s[28:29], v[0:1]
	v_fmac_f64_e32 v[92:93], v[154:155], v[196:197]
	;; [unrolled: 1-line block ×3, first 2 shown]
	v_add_f64 v[32:33], v[28:29], v[144:145]
	v_add_f64 v[36:37], v[30:31], v[144:145]
	v_fmac_f64_e32 v[140:141], s[28:29], v[0:1]
	v_fmac_f64_e32 v[4:5], s[28:29], v[0:1]
	;; [unrolled: 1-line block ×4, first 2 shown]
	v_add_f64 v[26:27], v[38:39], -v[8:9]
	v_add_f64 v[38:39], v[8:9], v[38:39]
	v_add_f64 v[0:1], v[12:13], v[110:111]
	;; [unrolled: 1-line block ×4, first 2 shown]
	v_fmac_f64_e32 v[88:89], s[28:29], v[2:3]
	v_add_f64 v[24:25], v[10:11], v[36:37]
	v_add_f64 v[28:29], v[32:33], -v[6:7]
	v_add_f64 v[30:31], v[4:5], v[34:35]
	v_add_f64 v[32:33], v[6:7], v[32:33]
	v_add_f64 v[34:35], v[34:35], -v[4:5]
	v_add_f64 v[36:37], v[36:37], -v[10:11]
	v_add_f64 v[2:3], v[14:15], v[100:101]
	v_add_f64 v[4:5], v[12:13], -v[110:111]
	v_add_f64 v[6:7], v[14:15], -v[100:101]
	;; [unrolled: 3-line block ×3, first 2 shown]
	v_add_f64 v[92:93], v[104:105], v[106:107]
	v_add_f64 v[98:99], v[94:95], v[96:97]
	v_add_f64 v[100:101], v[106:107], -v[104:105]
	v_add_f64 v[94:95], v[96:97], -v[94:95]
	v_add_f64 v[96:97], v[8:9], v[0:1]
	v_add_f64 v[20:21], v[88:89], v[90:91]
	v_add_f64 v[22:23], v[142:143], -v[140:141]
	v_add_f64 v[88:89], v[90:91], -v[88:89]
	;; [unrolled: 4-line block ×3, first 2 shown]
	v_add_f64 v[8:9], v[92:93], -v[8:9]
	v_add_f64 v[108:109], v[100:101], v[12:13]
	v_add_f64 v[142:143], v[94:95], -v[14:15]
	v_add_f64 v[92:93], v[92:93], v[96:97]
	v_add_f64 v[106:107], v[10:11], -v[2:3]
	v_add_f64 v[2:3], v[2:3], -v[98:99]
	;; [unrolled: 1-line block ×3, first 2 shown]
	v_add_f64 v[110:111], v[94:95], v[14:15]
	v_add_f64 v[140:141], v[100:101], -v[12:13]
	v_add_f64 v[100:101], v[4:5], -v[100:101]
	;; [unrolled: 1-line block ×5, first 2 shown]
	v_add_f64 v[96:97], v[98:99], v[102:103]
	v_add_f64 v[98:99], v[108:109], v[4:5]
	;; [unrolled: 1-line block ×3, first 2 shown]
	v_mul_f64 v[4:5], v[0:1], s[14:15]
	v_mul_f64 v[0:1], v[142:143], s[18:19]
	v_add_f64 v[102:103], v[110:111], v[6:7]
	v_add_f64 v[138:139], v[138:139], v[96:97]
	v_mul_f64 v[6:7], v[2:3], s[14:15]
	v_mul_f64 v[2:3], v[8:9], s[2:3]
	;; [unrolled: 1-line block ×4, first 2 shown]
	v_fma_f64 v[92:93], s[20:21], v[92:93], v[136:137]
	v_fma_f64 v[144:145], s[2:3], v[8:9], v[4:5]
	v_fma_f64 v[148:149], v[14:15], s[16:17], -v[0:1]
	v_fmac_f64_e32 v[0:1], s[26:27], v[94:95]
	v_mul_f64 v[142:143], v[14:15], s[16:17]
	v_fma_f64 v[96:97], s[20:21], v[96:97], v[138:139]
	v_fma_f64 v[146:147], v[104:105], s[22:23], -v[2:3]
	v_fma_f64 v[108:109], v[106:107], s[22:23], -v[108:109]
	;; [unrolled: 1-line block ×4, first 2 shown]
	v_fmac_f64_e32 v[6:7], s[2:3], v[10:11]
	v_fma_f64 v[2:3], s[26:27], v[100:101], v[110:111]
	v_add_f64 v[4:5], v[144:145], v[92:93]
	v_fmac_f64_e32 v[0:1], s[28:29], v[102:103]
	v_mul_f64 v[140:141], v[12:13], s[16:17]
	v_fma_f64 v[110:111], v[12:13], s[16:17], -v[110:111]
	v_fma_f64 v[8:9], v[94:95], s[30:31], -v[142:143]
	v_add_f64 v[6:7], v[6:7], v[96:97]
	v_add_f64 v[94:95], v[146:147], v[92:93]
	;; [unrolled: 1-line block ×3, first 2 shown]
	v_fmac_f64_e32 v[2:3], s[28:29], v[98:99]
	v_fmac_f64_e32 v[148:149], s[28:29], v[102:103]
	v_add_f64 v[92:93], v[4:5], -v[0:1]
	v_add_f64 v[160:161], v[94:95], -v[148:149]
	v_add_f64 v[164:165], v[148:149], v[94:95]
	v_add_f64 v[94:95], v[2:3], v[6:7]
	v_accvgpr_write_b32 a68, v92
	s_movk_i32 s2, 0x81
	v_accvgpr_write_b32 a69, v93
	v_accvgpr_write_b32 a70, v94
	;; [unrolled: 1-line block ×3, first 2 shown]
	v_mov_b32_e32 v92, 0x38e
	v_cmp_lt_u16_e64 s[2:3], s2, v223
	v_fma_f64 v[10:11], v[100:101], s[30:31], -v[140:141]
	v_accvgpr_write_b32 a52, v196
	v_cndmask_b32_e64 v92, 0, v92, s[2:3]
	v_add_lshl_u32 v222, v194, v92, 4
	v_accvgpr_write_b32 a60, v200
	v_accvgpr_write_b32 a64, v204
	v_add_f64 v[100:101], v[108:109], v[96:97]
	v_add_f64 v[14:15], v[106:107], v[96:97]
	v_fmac_f64_e32 v[110:111], s[28:29], v[98:99]
	v_fmac_f64_e32 v[10:11], s[28:29], v[98:99]
	;; [unrolled: 1-line block ×3, first 2 shown]
	ds_write_b128 v222, v[16:19]
	ds_write_b128 v222, v[20:23] offset:2080
	ds_write_b128 v222, v[24:27] offset:4160
	;; [unrolled: 1-line block ×6, first 2 shown]
	v_lshlrev_b32_e32 v16, 4, v195
	v_accvgpr_write_b32 a53, v197
	v_accvgpr_write_b32 a54, v198
	;; [unrolled: 1-line block ×9, first 2 shown]
	v_add_f64 v[162:163], v[110:111], v[100:101]
	v_add_f64 v[166:167], v[100:101], -v[110:111]
	v_add_f64 v[168:169], v[12:13], -v[8:9]
	v_add_f64 v[170:171], v[10:11], v[14:15]
	v_accvgpr_write_b32 a43, v16
	s_and_saveexec_b64 s[2:3], s[0:1]
	s_cbranch_execz .LBB0_9
; %bb.8:
	v_add_f64 v[0:1], v[0:1], v[4:5]
	v_accvgpr_read_b32 v4, a43
	v_add_f64 v[10:11], v[14:15], -v[10:11]
	v_add_f64 v[8:9], v[8:9], v[12:13]
	v_add_f64 v[2:3], v[6:7], -v[2:3]
	ds_write_b128 v4, v[136:139] offset:14560
	ds_write_b128 v4, v[0:3] offset:16640
	;; [unrolled: 1-line block ×7, first 2 shown]
.LBB0_9:
	s_or_b64 exec, exec, s[2:3]
	v_mov_b32_e32 v213, v193
	v_lshl_add_u64 v[0:1], s[10:11], 0, v[212:213]
	s_movk_i32 s2, 0x3000
	v_add_co_u32_e64 v2, s[2:3], s2, v0
	s_waitcnt lgkmcnt(0)
	s_nop 0
	v_addc_co_u32_e64 v3, s[2:3], 0, v1, s[2:3]
	s_movk_i32 s2, 0x4000
	s_nop 0
	v_add_co_u32_e64 v4, s[2:3], s2, v0
	s_barrier
	s_nop 0
	v_addc_co_u32_e64 v5, s[2:3], 0, v1, s[2:3]
	s_movk_i32 s2, 0x5000
	global_load_dwordx4 v[140:143], v[2:3], off offset:2112
	global_load_dwordx4 v[136:139], v[4:5], off offset:928
	v_add_co_u32_e64 v2, s[2:3], s2, v0
	v_lshl_add_u64 v[184:185], s[8:9], 0, v[212:213]
	s_nop 0
	v_addc_co_u32_e64 v3, s[2:3], 0, v1, s[2:3]
	s_movk_i32 s2, 0x6000
	s_nop 0
	v_add_co_u32_e64 v0, s[2:3], s2, v0
	global_load_dwordx4 v[148:151], v[4:5], off offset:3840
	global_load_dwordx4 v[144:147], v[2:3], off offset:2656
	v_addc_co_u32_e64 v1, s[2:3], 0, v1, s[2:3]
	global_load_dwordx4 v[152:155], v[0:1], off offset:1472
	ds_read_b128 v[0:3], v212
	ds_read_b128 v[4:7], v212 offset:2912
	ds_read_b128 v[8:11], v212 offset:17472
	;; [unrolled: 1-line block ×9, first 2 shown]
	s_mov_b64 s[2:3], 0x71c0
	s_mov_b32 s16, 0x134454ff
	s_mov_b32 s17, 0xbfee6f0e
	;; [unrolled: 1-line block ×10, first 2 shown]
	s_waitcnt vmcnt(4) lgkmcnt(3)
	v_mul_f64 v[88:89], v[26:27], v[142:143]
	v_mul_f64 v[90:91], v[24:25], v[142:143]
	s_waitcnt vmcnt(3)
	v_mul_f64 v[92:93], v[10:11], v[138:139]
	v_mul_f64 v[94:95], v[8:9], v[138:139]
	v_fma_f64 v[24:25], v[24:25], v[140:141], -v[88:89]
	v_fmac_f64_e32 v[90:91], v[26:27], v[140:141]
	v_fma_f64 v[26:27], v[8:9], v[136:137], -v[92:93]
	v_fmac_f64_e32 v[94:95], v[10:11], v[136:137]
	v_add_f64 v[8:9], v[0:1], -v[24:25]
	s_waitcnt vmcnt(2)
	v_mul_f64 v[96:97], v[14:15], v[150:151]
	v_mul_f64 v[98:99], v[12:13], v[150:151]
	s_waitcnt vmcnt(1) lgkmcnt(1)
	v_mul_f64 v[100:101], v[34:35], v[146:147]
	v_mul_f64 v[102:103], v[32:33], v[146:147]
	s_waitcnt vmcnt(0) lgkmcnt(0)
	v_mul_f64 v[104:105], v[38:39], v[154:155]
	v_mul_f64 v[106:107], v[36:37], v[154:155]
	v_fma_f64 v[88:89], v[12:13], v[148:149], -v[96:97]
	v_fmac_f64_e32 v[98:99], v[14:15], v[148:149]
	v_fma_f64 v[32:33], v[32:33], v[144:145], -v[100:101]
	v_fmac_f64_e32 v[102:103], v[34:35], v[144:145]
	;; [unrolled: 2-line block ×3, first 2 shown]
	v_add_f64 v[10:11], v[2:3], -v[90:91]
	v_add_f64 v[12:13], v[4:5], -v[26:27]
	;; [unrolled: 1-line block ×9, first 2 shown]
	v_fma_f64 v[0:1], v[0:1], 2.0, -v[8:9]
	v_fma_f64 v[2:3], v[2:3], 2.0, -v[10:11]
	;; [unrolled: 1-line block ×10, first 2 shown]
	ds_write_b128 v212, v[8:11] offset:14560
	ds_write_b128 v212, v[12:15] offset:17472
	;; [unrolled: 1-line block ×3, first 2 shown]
	ds_write_b128 v212, v[0:3]
	ds_write_b128 v212, v[4:7] offset:2912
	ds_write_b128 v212, v[16:19] offset:5824
	;; [unrolled: 1-line block ×6, first 2 shown]
	v_lshl_add_u64 v[0:1], v[184:185], 0, s[2:3]
	s_movk_i32 s2, 0x7000
	v_add_co_u32_e64 v2, s[2:3], s2, v184
	s_waitcnt lgkmcnt(0)
	s_nop 0
	v_addc_co_u32_e64 v3, s[2:3], 0, v185, s[2:3]
	s_mov_b32 s2, 0x8000
	s_barrier
	global_load_dwordx4 v[172:175], v[2:3], off offset:448
	global_load_dwordx4 v[176:179], v[0:1], off offset:2912
	v_add_co_u32_e64 v0, s[2:3], s2, v184
	s_nop 1
	v_addc_co_u32_e64 v1, s[2:3], 0, v185, s[2:3]
	s_mov_b32 s2, 0x9000
	s_nop 0
	v_add_co_u32_e64 v4, s[2:3], s2, v184
	global_load_dwordx4 v[180:183], v[0:1], off offset:2176
	s_nop 0
	v_addc_co_u32_e64 v5, s[2:3], 0, v185, s[2:3]
	global_load_dwordx4 v[0:3], v[4:5], off offset:992
	s_nop 0
	global_load_dwordx4 v[4:7], v[4:5], off offset:3904
	s_mov_b32 s2, 0xa000
	v_add_co_u32_e64 v8, s[2:3], s2, v184
	s_nop 1
	v_addc_co_u32_e64 v9, s[2:3], 0, v185, s[2:3]
	global_load_dwordx4 v[8:11], v[8:9], off offset:2720
	s_mov_b32 s2, 0xb000
	v_add_co_u32_e64 v12, s[2:3], s2, v184
	s_nop 1
	v_addc_co_u32_e64 v13, s[2:3], 0, v185, s[2:3]
	global_load_dwordx4 v[12:15], v[12:13], off offset:1536
	s_mov_b32 s2, 0xc000
	v_add_co_u32_e64 v20, s[2:3], s2, v184
	s_nop 1
	v_addc_co_u32_e64 v21, s[2:3], 0, v185, s[2:3]
	global_load_dwordx4 v[16:19], v[20:21], off offset:352
	s_nop 0
	global_load_dwordx4 v[20:23], v[20:21], off offset:3264
	s_mov_b32 s2, 0xd000
	v_add_co_u32_e64 v24, s[2:3], s2, v184
	s_nop 1
	v_addc_co_u32_e64 v25, s[2:3], 0, v185, s[2:3]
	global_load_dwordx4 v[24:27], v[24:25], off offset:2080
	ds_read_b128 v[28:31], v212
	ds_read_b128 v[32:35], v212 offset:2912
	ds_read_b128 v[36:39], v212 offset:5824
	;; [unrolled: 1-line block ×5, first 2 shown]
	s_mov_b32 s3, 0x3fe2cf23
	s_mov_b32 s2, s14
	s_waitcnt vmcnt(9) lgkmcnt(5)
	v_mul_f64 v[100:101], v[30:31], v[174:175]
	v_mul_f64 v[102:103], v[28:29], v[174:175]
	s_waitcnt vmcnt(8) lgkmcnt(4)
	v_mul_f64 v[104:105], v[34:35], v[178:179]
	v_mul_f64 v[106:107], v[32:33], v[178:179]
	v_fma_f64 v[100:101], v[28:29], v[172:173], -v[100:101]
	v_fmac_f64_e32 v[102:103], v[30:31], v[172:173]
	v_fma_f64 v[104:105], v[32:33], v[176:177], -v[104:105]
	v_fmac_f64_e32 v[106:107], v[34:35], v[176:177]
	s_waitcnt vmcnt(7) lgkmcnt(3)
	v_mul_f64 v[108:109], v[38:39], v[182:183]
	v_mul_f64 v[110:111], v[36:37], v[182:183]
	s_waitcnt vmcnt(6) lgkmcnt(2)
	v_mul_f64 v[156:157], v[90:91], v[2:3]
	v_mul_f64 v[158:159], v[88:89], v[2:3]
	s_waitcnt vmcnt(5) lgkmcnt(1)
	v_mul_f64 v[2:3], v[94:95], v[6:7]
	v_fma_f64 v[108:109], v[36:37], v[180:181], -v[108:109]
	v_fmac_f64_e32 v[110:111], v[38:39], v[180:181]
	v_fma_f64 v[156:157], v[88:89], v[0:1], -v[156:157]
	v_fmac_f64_e32 v[158:159], v[90:91], v[0:1]
	v_fma_f64 v[0:1], v[92:93], v[4:5], -v[2:3]
	ds_write_b128 v212, v[100:103]
	ds_write_b128 v212, v[104:107] offset:2912
	ds_write_b128 v212, v[108:111] offset:5824
	;; [unrolled: 1-line block ×3, first 2 shown]
	v_mul_f64 v[2:3], v[92:93], v[6:7]
	v_fmac_f64_e32 v[2:3], v[94:95], v[4:5]
	ds_read_b128 v[4:7], v212 offset:17472
	ds_write_b128 v212, v[0:3] offset:11648
	s_waitcnt vmcnt(4) lgkmcnt(6)
	v_mul_f64 v[0:1], v[98:99], v[10:11]
	v_mul_f64 v[2:3], v[96:97], v[10:11]
	v_fma_f64 v[0:1], v[96:97], v[8:9], -v[0:1]
	v_fmac_f64_e32 v[2:3], v[98:99], v[8:9]
	ds_write_b128 v212, v[0:3] offset:14560
	ds_read_b128 v[0:3], v212 offset:20384
	s_waitcnt vmcnt(3) lgkmcnt(3)
	v_mul_f64 v[8:9], v[6:7], v[14:15]
	v_mul_f64 v[10:11], v[4:5], v[14:15]
	v_fma_f64 v[8:9], v[4:5], v[12:13], -v[8:9]
	v_fmac_f64_e32 v[10:11], v[6:7], v[12:13]
	ds_write_b128 v212, v[8:11] offset:17472
	ds_read_b128 v[8:11], v212 offset:23296
	s_waitcnt vmcnt(2) lgkmcnt(2)
	v_mul_f64 v[4:5], v[2:3], v[18:19]
	v_mul_f64 v[6:7], v[0:1], v[18:19]
	v_fma_f64 v[4:5], v[0:1], v[16:17], -v[4:5]
	v_fmac_f64_e32 v[6:7], v[2:3], v[16:17]
	ds_read_b128 v[0:3], v212 offset:26208
	ds_write_b128 v212, v[4:7] offset:20384
	s_waitcnt vmcnt(1) lgkmcnt(2)
	v_mul_f64 v[4:5], v[10:11], v[22:23]
	v_mul_f64 v[6:7], v[8:9], v[22:23]
	v_fma_f64 v[4:5], v[8:9], v[20:21], -v[4:5]
	v_fmac_f64_e32 v[6:7], v[10:11], v[20:21]
	ds_write_b128 v212, v[4:7] offset:23296
	s_waitcnt vmcnt(0) lgkmcnt(2)
	v_mul_f64 v[4:5], v[2:3], v[26:27]
	v_mul_f64 v[6:7], v[0:1], v[26:27]
	v_fma_f64 v[4:5], v[0:1], v[24:25], -v[4:5]
	v_fmac_f64_e32 v[6:7], v[2:3], v[24:25]
	ds_write_b128 v212, v[4:7] offset:26208
	s_waitcnt lgkmcnt(0)
	s_barrier
	ds_read_b128 v[180:183], v212
	ds_read_b128 v[194:197], v212 offset:2912
	ds_read_b128 v[0:3], v212 offset:5824
	;; [unrolled: 1-line block ×9, first 2 shown]
	s_waitcnt lgkmcnt(5)
	v_add_f64 v[90:91], v[0:1], -v[8:9]
	s_waitcnt lgkmcnt(3)
	v_add_f64 v[34:35], v[8:9], v[16:17]
	v_fma_f64 v[34:35], -0.5, v[34:35], v[180:181]
	s_waitcnt lgkmcnt(1)
	v_add_f64 v[36:37], v[2:3], -v[26:27]
	v_fma_f64 v[38:39], s[16:17], v[36:37], v[34:35]
	v_add_f64 v[88:89], v[10:11], -v[18:19]
	v_add_f64 v[92:93], v[24:25], -v[16:17]
	v_fmac_f64_e32 v[34:35], s[8:9], v[36:37]
	v_fmac_f64_e32 v[38:39], s[14:15], v[88:89]
	v_add_f64 v[90:91], v[90:91], v[92:93]
	v_fmac_f64_e32 v[34:35], s[2:3], v[88:89]
	v_fmac_f64_e32 v[38:39], s[10:11], v[90:91]
	;; [unrolled: 1-line block ×3, first 2 shown]
	v_add_f64 v[90:91], v[0:1], v[24:25]
	v_add_f64 v[32:33], v[180:181], v[0:1]
	v_fmac_f64_e32 v[180:181], -0.5, v[90:91]
	v_add_f64 v[32:33], v[32:33], v[8:9]
	v_fma_f64 v[90:91], s[8:9], v[88:89], v[180:181]
	v_add_f64 v[92:93], v[8:9], -v[0:1]
	v_add_f64 v[94:95], v[16:17], -v[24:25]
	v_fmac_f64_e32 v[180:181], s[16:17], v[88:89]
	v_add_f64 v[88:89], v[10:11], v[18:19]
	v_add_f64 v[32:33], v[32:33], v[16:17]
	v_fmac_f64_e32 v[90:91], s[14:15], v[36:37]
	v_add_f64 v[92:93], v[92:93], v[94:95]
	v_fmac_f64_e32 v[180:181], s[2:3], v[36:37]
	v_fma_f64 v[88:89], -0.5, v[88:89], v[182:183]
	v_add_f64 v[0:1], v[0:1], -v[24:25]
	v_add_f64 v[32:33], v[32:33], v[24:25]
	v_fmac_f64_e32 v[90:91], s[10:11], v[92:93]
	v_fmac_f64_e32 v[180:181], s[10:11], v[92:93]
	v_fma_f64 v[24:25], s[8:9], v[0:1], v[88:89]
	v_add_f64 v[8:9], v[8:9], -v[16:17]
	v_add_f64 v[16:17], v[2:3], -v[10:11]
	;; [unrolled: 1-line block ×3, first 2 shown]
	v_fmac_f64_e32 v[88:89], s[16:17], v[0:1]
	v_fmac_f64_e32 v[24:25], s[2:3], v[8:9]
	v_add_f64 v[16:17], v[16:17], v[92:93]
	v_fmac_f64_e32 v[88:89], s[14:15], v[8:9]
	v_fmac_f64_e32 v[24:25], s[10:11], v[16:17]
	;; [unrolled: 1-line block ×3, first 2 shown]
	v_add_f64 v[16:17], v[2:3], v[26:27]
	v_add_f64 v[36:37], v[182:183], v[2:3]
	v_fmac_f64_e32 v[182:183], -0.5, v[16:17]
	v_add_f64 v[36:37], v[36:37], v[10:11]
	v_fma_f64 v[16:17], s[16:17], v[8:9], v[182:183]
	v_add_f64 v[2:3], v[10:11], -v[2:3]
	v_add_f64 v[10:11], v[18:19], -v[26:27]
	v_fmac_f64_e32 v[182:183], s[8:9], v[8:9]
	v_fmac_f64_e32 v[16:17], s[2:3], v[0:1]
	v_add_f64 v[2:3], v[2:3], v[10:11]
	v_fmac_f64_e32 v[182:183], s[14:15], v[0:1]
	v_fmac_f64_e32 v[16:17], s[10:11], v[2:3]
	;; [unrolled: 1-line block ×3, first 2 shown]
	v_add_f64 v[2:3], v[12:13], v[20:21]
	v_add_f64 v[36:37], v[36:37], v[18:19]
	v_fma_f64 v[2:3], -0.5, v[2:3], v[194:195]
	s_waitcnt lgkmcnt(0)
	v_add_f64 v[8:9], v[6:7], -v[30:31]
	v_add_f64 v[36:37], v[36:37], v[26:27]
	v_fma_f64 v[10:11], s[16:17], v[8:9], v[2:3]
	v_add_f64 v[18:19], v[14:15], -v[22:23]
	v_add_f64 v[26:27], v[4:5], -v[12:13]
	;; [unrolled: 1-line block ×3, first 2 shown]
	v_fmac_f64_e32 v[2:3], s[8:9], v[8:9]
	v_fmac_f64_e32 v[10:11], s[14:15], v[18:19]
	v_add_f64 v[26:27], v[26:27], v[92:93]
	v_fmac_f64_e32 v[2:3], s[2:3], v[18:19]
	v_fmac_f64_e32 v[10:11], s[10:11], v[26:27]
	;; [unrolled: 1-line block ×3, first 2 shown]
	v_add_f64 v[26:27], v[4:5], v[28:29]
	v_add_f64 v[0:1], v[194:195], v[4:5]
	v_fmac_f64_e32 v[194:195], -0.5, v[26:27]
	v_add_f64 v[0:1], v[0:1], v[12:13]
	v_fma_f64 v[26:27], s[8:9], v[18:19], v[194:195]
	v_add_f64 v[92:93], v[12:13], -v[4:5]
	v_add_f64 v[94:95], v[20:21], -v[28:29]
	v_fmac_f64_e32 v[194:195], s[16:17], v[18:19]
	v_add_f64 v[18:19], v[14:15], v[22:23]
	v_add_f64 v[0:1], v[0:1], v[20:21]
	v_fmac_f64_e32 v[26:27], s[14:15], v[8:9]
	v_add_f64 v[92:93], v[92:93], v[94:95]
	v_fmac_f64_e32 v[194:195], s[2:3], v[8:9]
	v_fma_f64 v[18:19], -0.5, v[18:19], v[196:197]
	v_add_f64 v[4:5], v[4:5], -v[28:29]
	v_add_f64 v[0:1], v[0:1], v[28:29]
	v_fmac_f64_e32 v[26:27], s[10:11], v[92:93]
	v_fmac_f64_e32 v[194:195], s[10:11], v[92:93]
	v_fma_f64 v[28:29], s[8:9], v[4:5], v[18:19]
	v_add_f64 v[12:13], v[12:13], -v[20:21]
	v_add_f64 v[20:21], v[6:7], -v[14:15]
	;; [unrolled: 1-line block ×3, first 2 shown]
	v_fmac_f64_e32 v[18:19], s[16:17], v[4:5]
	v_fmac_f64_e32 v[28:29], s[2:3], v[12:13]
	v_add_f64 v[20:21], v[20:21], v[92:93]
	v_fmac_f64_e32 v[18:19], s[14:15], v[12:13]
	v_fmac_f64_e32 v[28:29], s[10:11], v[20:21]
	;; [unrolled: 1-line block ×3, first 2 shown]
	v_add_f64 v[20:21], v[6:7], v[30:31]
	v_add_f64 v[8:9], v[196:197], v[6:7]
	v_fmac_f64_e32 v[196:197], -0.5, v[20:21]
	v_add_f64 v[8:9], v[8:9], v[14:15]
	v_fma_f64 v[20:21], s[16:17], v[12:13], v[196:197]
	v_add_f64 v[6:7], v[14:15], -v[6:7]
	v_add_f64 v[14:15], v[22:23], -v[30:31]
	v_fmac_f64_e32 v[196:197], s[8:9], v[12:13]
	v_fmac_f64_e32 v[20:21], s[2:3], v[4:5]
	v_add_f64 v[6:7], v[6:7], v[14:15]
	v_fmac_f64_e32 v[196:197], s[14:15], v[4:5]
	v_fmac_f64_e32 v[20:21], s[10:11], v[6:7]
	;; [unrolled: 1-line block ×3, first 2 shown]
	v_mul_f64 v[4:5], v[28:29], s[14:15]
	v_mul_f64 v[6:7], v[20:21], s[16:17]
	;; [unrolled: 1-line block ×3, first 2 shown]
	s_mov_b32 s17, 0xbfd3c6ef
	s_mov_b32 s16, s10
	v_mul_f64 v[14:15], v[18:19], s[14:15]
	s_mov_b32 s15, 0xbfe9e377
	s_mov_b32 s14, s18
	v_add_f64 v[8:9], v[8:9], v[22:23]
	v_fmac_f64_e32 v[4:5], s[18:19], v[10:11]
	v_mul_f64 v[10:11], v[10:11], s[2:3]
	v_mul_f64 v[20:21], v[20:21], s[10:11]
	;; [unrolled: 1-line block ×4, first 2 shown]
	v_add_f64 v[8:9], v[8:9], v[30:31]
	v_fmac_f64_e32 v[6:7], s[10:11], v[26:27]
	v_fmac_f64_e32 v[12:13], s[16:17], v[194:195]
	;; [unrolled: 1-line block ×7, first 2 shown]
	v_add_f64 v[172:173], v[32:33], v[0:1]
	v_add_f64 v[176:177], v[38:39], v[4:5]
	;; [unrolled: 1-line block ×10, first 2 shown]
	v_add_f64 v[196:197], v[32:33], -v[0:1]
	v_add_f64 v[200:201], v[38:39], -v[4:5]
	;; [unrolled: 1-line block ×10, first 2 shown]
	s_barrier
	ds_write_b128 v218, v[172:175]
	ds_write_b128 v218, v[176:179] offset:16
	ds_write_b128 v218, v[184:187] offset:32
	;; [unrolled: 1-line block ×9, first 2 shown]
	s_waitcnt lgkmcnt(0)
	s_barrier
	s_and_saveexec_b64 s[2:3], vcc
	s_cbranch_execz .LBB0_11
; %bb.10:
	ds_read_b128 v[172:175], v212
	ds_read_b128 v[176:179], v212 offset:2240
	ds_read_b128 v[184:187], v212 offset:4480
	;; [unrolled: 1-line block ×12, first 2 shown]
.LBB0_11:
	s_or_b64 exec, exec, s[2:3]
	s_waitcnt lgkmcnt(11)
	v_mul_f64 v[0:1], v[54:55], v[176:177]
	v_fma_f64 v[2:3], v[52:53], v[178:179], -v[0:1]
	s_waitcnt lgkmcnt(10)
	v_mul_f64 v[0:1], v[50:51], v[184:185]
	v_mul_f64 v[216:217], v[54:55], v[178:179]
	v_fma_f64 v[32:33], v[48:49], v[186:187], -v[0:1]
	s_waitcnt lgkmcnt(9)
	v_mul_f64 v[178:179], v[46:47], v[190:191]
	v_mul_f64 v[0:1], v[46:47], v[188:189]
	v_fmac_f64_e32 v[216:217], v[52:53], v[176:177]
	v_mul_f64 v[176:177], v[50:51], v[186:187]
	v_fmac_f64_e32 v[178:179], v[44:45], v[188:189]
	v_fma_f64 v[44:45], v[44:45], v[190:191], -v[0:1]
	s_waitcnt lgkmcnt(8)
	v_mul_f64 v[0:1], v[42:43], v[192:193]
	v_fmac_f64_e32 v[176:177], v[48:49], v[184:185]
	v_fma_f64 v[48:49], v[40:41], v[194:195], -v[0:1]
	s_waitcnt lgkmcnt(7)
	v_mul_f64 v[0:1], v[70:71], v[196:197]
	v_fma_f64 v[90:91], v[68:69], v[198:199], -v[0:1]
	s_waitcnt lgkmcnt(6)
	v_mul_f64 v[0:1], v[66:67], v[200:201]
	;; [unrolled: 3-line block ×3, first 2 shown]
	v_mul_f64 v[186:187], v[70:71], v[198:199]
	v_mul_f64 v[70:71], v[62:63], v[206:207]
	v_fma_f64 v[62:63], v[60:61], v[206:207], -v[0:1]
	s_waitcnt lgkmcnt(4)
	v_mul_f64 v[190:191], v[58:59], v[182:183]
	v_mul_f64 v[0:1], v[58:59], v[180:181]
	v_fmac_f64_e32 v[190:191], v[56:57], v[180:181]
	v_fma_f64 v[92:93], v[56:57], v[182:183], -v[0:1]
	s_waitcnt lgkmcnt(3)
	v_mul_f64 v[180:181], v[86:87], v[210:211]
	v_mul_f64 v[0:1], v[86:87], v[208:209]
	v_fmac_f64_e32 v[180:181], v[84:85], v[208:209]
	;; [unrolled: 5-line block ×5, first 2 shown]
	v_fma_f64 v[72:73], v[72:73], v[170:171], -v[0:1]
	v_accvgpr_write_b32 a73, v3
	s_mov_b32 s10, 0x42a4c3d2
	v_add_f64 v[0:1], v[2:3], v[72:73]
	v_accvgpr_write_b32 a72, v2
	v_add_f64 v[2:3], v[2:3], -v[72:73]
	s_mov_b32 s11, 0xbfea55e2
	s_mov_b32 s8, 0x1ea71119
	v_mul_f64 v[8:9], v[2:3], s[10:11]
	v_add_f64 v[236:237], v[216:217], v[76:77]
	s_mov_b32 s9, 0x3fe22d96
	v_accvgpr_write_b32 a93, v9
	v_add_f64 v[238:239], v[216:217], -v[76:77]
	v_mul_f64 v[12:13], v[0:1], s[8:9]
	v_accvgpr_write_b32 a92, v8
	v_fma_f64 v[8:9], v[236:237], s[8:9], -v[8:9]
	s_mov_b32 s24, 0x66966769
	v_add_f64 v[10:11], v[172:173], v[8:9]
	v_accvgpr_write_b32 a95, v13
	v_fma_f64 v[8:9], s[10:11], v[238:239], v[12:13]
	s_mov_b32 s25, 0xbfefc445
	v_accvgpr_write_b32 a94, v12
	v_add_f64 v[12:13], v[174:175], v[8:9]
	s_mov_b32 s14, 0xebaa3ed8
	v_mul_f64 v[8:9], v[2:3], s[24:25]
	s_mov_b32 s15, 0x3fbedb7d
	v_accvgpr_write_b32 a97, v9
	v_mul_f64 v[16:17], v[0:1], s[14:15]
	v_accvgpr_write_b32 a96, v8
	v_fma_f64 v[8:9], v[236:237], s[14:15], -v[8:9]
	s_mov_b32 s26, 0x2ef20147
	v_add_f64 v[14:15], v[172:173], v[8:9]
	v_accvgpr_write_b32 a101, v17
	v_fma_f64 v[8:9], s[24:25], v[238:239], v[16:17]
	s_mov_b32 s27, 0xbfedeba7
	v_accvgpr_write_b32 a100, v16
	v_add_f64 v[16:17], v[174:175], v[8:9]
	s_mov_b32 s28, 0xb2365da1
	v_mul_f64 v[8:9], v[2:3], s[26:27]
	s_mov_b32 s29, 0xbfd6b1d8
	v_accvgpr_write_b32 a107, v9
	s_mov_b32 s20, 0x4bc48dbf
	v_fmac_f64_e32 v[186:187], v[68:69], v[196:197]
	v_mul_f64 v[68:69], v[66:67], v[202:203]
	s_mov_b32 s2, 0xe00740e9
	s_mov_b32 s40, 0x4267c47c
	v_mul_f64 v[224:225], v[0:1], s[28:29]
	v_accvgpr_write_b32 a106, v8
	v_fma_f64 v[8:9], v[236:237], s[28:29], -v[8:9]
	s_mov_b32 s16, 0xd0032e0c
	s_mov_b32 s22, 0x93053d00
	s_mov_b32 s21, 0xbfcea1e5
	v_fmac_f64_e32 v[68:69], v[64:65], v[200:201]
	s_mov_b32 s3, 0x3fec55a7
	s_mov_b32 s41, 0xbfddbe06
	v_add_f64 v[18:19], v[172:173], v[8:9]
	v_fma_f64 v[8:9], s[26:27], v[238:239], v[224:225]
	s_mov_b32 s17, 0xbfe7f3cc
	s_mov_b32 s23, 0xbfef11f4
	v_mul_f64 v[64:65], v[2:3], s[20:21]
	v_accvgpr_write_b32 a75, v33
	v_mul_f64 v[4:5], v[2:3], s[40:41]
	v_mul_f64 v[6:7], v[0:1], s[2:3]
	v_add_f64 v[20:21], v[174:175], v[8:9]
	v_mul_f64 v[8:9], v[0:1], s[16:17]
	v_mul_f64 v[66:67], v[0:1], s[22:23]
	v_fma_f64 v[0:1], v[236:237], s[22:23], -v[64:65]
	v_add_f64 v[30:31], v[32:33], v[78:79]
	v_accvgpr_write_b32 a74, v32
	v_add_f64 v[32:33], v[32:33], -v[78:79]
	v_accvgpr_write_b32 a89, v5
	s_mov_b32 s18, 0x24c2f84
	v_add_f64 v[26:27], v[172:173], v[0:1]
	v_fma_f64 v[0:1], s[20:21], v[238:239], v[66:67]
	v_mul_f64 v[34:35], v[32:33], s[10:11]
	v_accvgpr_write_b32 a88, v4
	v_fma_f64 v[4:5], v[236:237], s[2:3], -v[4:5]
	v_accvgpr_write_b32 a91, v7
	s_mov_b32 s19, 0xbfe5384d
	v_add_f64 v[28:29], v[174:175], v[0:1]
	v_add_f64 v[0:1], v[176:177], v[80:81]
	v_accvgpr_write_b32 a99, v35
	v_add_f64 v[4:5], v[172:173], v[4:5]
	v_accvgpr_write_b32 a90, v6
	v_fma_f64 v[6:7], s[40:41], v[238:239], v[6:7]
	v_mul_f64 v[244:245], v[2:3], s[18:19]
	v_add_f64 v[2:3], v[176:177], -v[80:81]
	v_mul_f64 v[36:37], v[30:31], s[8:9]
	v_accvgpr_write_b32 a98, v34
	v_fma_f64 v[34:35], v[0:1], s[8:9], -v[34:35]
	v_add_f64 v[6:7], v[174:175], v[6:7]
	v_add_f64 v[4:5], v[34:35], v[4:5]
	v_fma_f64 v[34:35], s[10:11], v[2:3], v[36:37]
	v_add_f64 v[6:7], v[34:35], v[6:7]
	v_mul_f64 v[34:35], v[32:33], s[26:27]
	v_accvgpr_write_b32 a103, v37
	v_accvgpr_write_b32 a105, v35
	;; [unrolled: 1-line block ×3, first 2 shown]
	v_mul_f64 v[36:37], v[30:31], s[28:29]
	v_accvgpr_write_b32 a104, v34
	v_fma_f64 v[34:35], v[0:1], s[28:29], -v[34:35]
	v_add_f64 v[10:11], v[34:35], v[10:11]
	v_fma_f64 v[34:35], s[26:27], v[2:3], v[36:37]
	v_add_f64 v[12:13], v[34:35], v[12:13]
	v_mul_f64 v[34:35], v[32:33], s[20:21]
	v_accvgpr_write_b32 a113, v35
	v_mul_f64 v[226:227], v[30:31], s[22:23]
	v_accvgpr_write_b32 a112, v34
	v_fma_f64 v[34:35], v[0:1], s[22:23], -v[34:35]
	s_mov_b32 s39, 0x3fe5384d
	s_mov_b32 s38, s18
	v_add_f64 v[34:35], v[34:35], v[14:15]
	v_fma_f64 v[14:15], s[20:21], v[2:3], v[226:227]
	v_mul_f64 v[234:235], v[32:33], s[38:39]
	v_mul_f64 v[184:185], v[42:43], v[194:195]
	v_add_f64 v[38:39], v[14:15], v[16:17]
	v_mul_f64 v[250:251], v[30:31], s[16:17]
	v_fma_f64 v[14:15], v[0:1], s[16:17], -v[234:235]
	s_mov_b32 s35, 0x3fefc445
	s_mov_b32 s34, s24
	v_fmac_f64_e32 v[184:185], v[40:41], v[192:193]
	v_fma_f64 v[22:23], v[236:237], s[16:17], -v[244:245]
	v_accvgpr_write_b32 a109, v37
	v_add_f64 v[40:41], v[14:15], v[18:19]
	v_fma_f64 v[14:15], s[38:39], v[2:3], v[250:251]
	v_mul_f64 v[18:19], v[32:33], s[34:35]
	v_add_f64 v[22:23], v[172:173], v[22:23]
	v_fma_f64 v[24:25], s[18:19], v[238:239], v[8:9]
	v_accvgpr_write_b32 a108, v36
	v_add_f64 v[20:21], v[14:15], v[20:21]
	v_mul_f64 v[36:37], v[30:31], s[14:15]
	v_fma_f64 v[14:15], v[0:1], s[14:15], -v[18:19]
	s_mov_b32 s31, 0x3fddbe06
	s_mov_b32 s30, s40
	v_fmac_f64_e32 v[70:71], v[60:61], v[204:205]
	v_add_f64 v[24:25], v[174:175], v[24:25]
	v_add_f64 v[22:23], v[14:15], v[22:23]
	v_fma_f64 v[14:15], s[34:35], v[2:3], v[36:37]
	v_mul_f64 v[204:205], v[32:33], s[30:31]
	v_add_f64 v[42:43], v[14:15], v[24:25]
	v_mul_f64 v[208:209], v[30:31], s[2:3]
	v_fma_f64 v[14:15], v[0:1], s[2:3], -v[204:205]
	v_add_f64 v[32:33], v[44:45], -v[82:83]
	v_add_f64 v[26:27], v[14:15], v[26:27]
	v_fma_f64 v[14:15], s[30:31], v[2:3], v[208:209]
	v_mul_f64 v[24:25], v[32:33], s[24:25]
	v_add_f64 v[28:29], v[14:15], v[28:29]
	v_add_f64 v[14:15], v[178:179], v[84:85]
	;; [unrolled: 1-line block ×3, first 2 shown]
	v_accvgpr_write_b32 a77, v45
	v_accvgpr_write_b32 a111, v25
	v_add_f64 v[16:17], v[178:179], -v[84:85]
	v_accvgpr_write_b32 a76, v44
	v_mul_f64 v[44:45], v[30:31], s[14:15]
	v_accvgpr_write_b32 a110, v24
	v_fma_f64 v[24:25], v[14:15], s[14:15], -v[24:25]
	v_add_f64 v[4:5], v[24:25], v[4:5]
	v_fma_f64 v[24:25], s[24:25], v[16:17], v[44:45]
	v_mul_f64 v[228:229], v[32:33], s[20:21]
	v_add_f64 v[6:7], v[24:25], v[6:7]
	v_mul_f64 v[230:231], v[30:31], s[22:23]
	v_fma_f64 v[24:25], v[14:15], s[22:23], -v[228:229]
	s_mov_b32 s43, 0x3fedeba7
	s_mov_b32 s42, s26
	v_add_f64 v[10:11], v[24:25], v[10:11]
	v_fma_f64 v[24:25], s[20:21], v[16:17], v[230:231]
	v_mul_f64 v[242:243], v[32:33], s[42:43]
	v_add_f64 v[12:13], v[24:25], v[12:13]
	v_mul_f64 v[248:249], v[30:31], s[28:29]
	v_fma_f64 v[24:25], v[14:15], s[28:29], -v[242:243]
	v_accvgpr_write_b32 a115, v45
	v_add_f64 v[34:35], v[24:25], v[34:35]
	v_fma_f64 v[24:25], s[42:43], v[16:17], v[248:249]
	v_mul_f64 v[214:215], v[32:33], s[30:31]
	v_accvgpr_write_b32 a114, v44
	v_add_f64 v[38:39], v[24:25], v[38:39]
	v_mul_f64 v[24:25], v[30:31], s[2:3]
	v_fma_f64 v[44:45], v[14:15], s[2:3], -v[214:215]
	v_add_f64 v[40:41], v[44:45], v[40:41]
	v_fma_f64 v[44:45], s[30:31], v[16:17], v[24:25]
	v_mul_f64 v[166:167], v[32:33], s[10:11]
	v_mul_f64 v[94:95], v[32:33], s[18:19]
	v_add_f64 v[20:21], v[44:45], v[20:21]
	v_mul_f64 v[158:159], v[30:31], s[8:9]
	v_fma_f64 v[44:45], v[14:15], s[8:9], -v[166:167]
	v_mul_f64 v[98:99], v[30:31], s[16:17]
	v_fma_f64 v[30:31], v[14:15], s[16:17], -v[94:95]
	v_accvgpr_write_b32 a79, v49
	v_add_f64 v[22:23], v[44:45], v[22:23]
	v_fma_f64 v[44:45], s[10:11], v[16:17], v[158:159]
	v_add_f64 v[26:27], v[30:31], v[26:27]
	v_fma_f64 v[30:31], s[18:19], v[16:17], v[98:99]
	v_add_f64 v[46:47], v[48:49], v[86:87]
	v_accvgpr_write_b32 a78, v48
	v_add_f64 v[48:49], v[48:49], -v[86:87]
	v_add_f64 v[42:43], v[44:45], v[42:43]
	v_add_f64 v[44:45], v[30:31], v[28:29]
	;; [unrolled: 1-line block ×3, first 2 shown]
	v_mul_f64 v[232:233], v[48:49], s[26:27]
	v_add_f64 v[32:33], v[184:185], -v[180:181]
	v_mul_f64 v[240:241], v[46:47], s[28:29]
	v_fma_f64 v[30:31], v[28:29], s[28:29], -v[232:233]
	v_add_f64 v[50:51], v[30:31], v[4:5]
	v_fma_f64 v[4:5], s[26:27], v[32:33], v[240:241]
	v_mul_f64 v[246:247], v[48:49], s[38:39]
	v_add_f64 v[52:53], v[4:5], v[6:7]
	v_mul_f64 v[252:253], v[46:47], s[16:17]
	v_fma_f64 v[4:5], v[28:29], s[16:17], -v[246:247]
	v_add_f64 v[54:55], v[4:5], v[10:11]
	v_fma_f64 v[4:5], s[38:39], v[32:33], v[252:253]
	v_add_f64 v[56:57], v[4:5], v[12:13]
	v_mul_f64 v[4:5], v[48:49], s[30:31]
	v_mul_f64 v[10:11], v[46:47], s[2:3]
	v_fma_f64 v[6:7], v[28:29], s[2:3], -v[4:5]
	v_add_f64 v[58:59], v[6:7], v[34:35]
	v_fma_f64 v[6:7], s[30:31], v[32:33], v[10:11]
	v_mul_f64 v[30:31], v[48:49], s[24:25]
	v_add_f64 v[38:39], v[6:7], v[38:39]
	v_mul_f64 v[168:169], v[46:47], s[14:15]
	v_fma_f64 v[6:7], v[28:29], s[14:15], -v[30:31]
	s_mov_b32 s45, 0x3fcea1e5
	s_mov_b32 s44, s20
	v_add_f64 v[40:41], v[6:7], v[40:41]
	v_fma_f64 v[6:7], s[24:25], v[32:33], v[168:169]
	v_mul_f64 v[88:89], v[48:49], s[44:45]
	v_add_f64 v[20:21], v[6:7], v[20:21]
	v_mul_f64 v[96:97], v[46:47], s[22:23]
	v_fma_f64 v[6:7], v[28:29], s[22:23], -v[88:89]
	s_mov_b32 s47, 0x3fea55e2
	s_mov_b32 s46, s10
	v_add_f64 v[60:61], v[6:7], v[22:23]
	v_fma_f64 v[6:7], s[44:45], v[32:33], v[96:97]
	v_mul_f64 v[218:219], v[48:49], s[46:47]
	v_add_f64 v[42:43], v[6:7], v[42:43]
	v_mul_f64 v[104:105], v[46:47], s[8:9]
	v_fma_f64 v[6:7], v[28:29], s[8:9], -v[218:219]
	v_add_f64 v[48:49], v[90:91], -v[92:93]
	v_add_f64 v[26:27], v[6:7], v[26:27]
	v_fma_f64 v[6:7], s[46:47], v[32:33], v[104:105]
	v_add_f64 v[160:161], v[186:187], v[190:191]
	v_add_f64 v[46:47], v[90:91], v[92:93]
	v_mul_f64 v[254:255], v[48:49], s[18:19]
	v_add_f64 v[44:45], v[6:7], v[44:45]
	v_add_f64 v[162:163], v[186:187], -v[190:191]
	v_mul_f64 v[6:7], v[46:47], s[16:17]
	v_fma_f64 v[12:13], v[160:161], s[16:17], -v[254:255]
	v_add_f64 v[50:51], v[12:13], v[50:51]
	v_fma_f64 v[12:13], s[18:19], v[162:163], v[6:7]
	v_add_f64 v[52:53], v[12:13], v[52:53]
	v_mul_f64 v[12:13], v[48:49], s[34:35]
	v_mul_f64 v[22:23], v[46:47], s[14:15]
	v_fma_f64 v[34:35], v[160:161], s[14:15], -v[12:13]
	v_accvgpr_write_b32 a86, v92
	v_add_f64 v[54:55], v[34:35], v[54:55]
	v_fma_f64 v[34:35], s[34:35], v[162:163], v[22:23]
	v_accvgpr_write_b32 a87, v93
	v_add_f64 v[92:93], v[34:35], v[56:57]
	v_mul_f64 v[34:35], v[48:49], s[10:11]
	v_mul_f64 v[74:75], v[46:47], s[8:9]
	v_fma_f64 v[56:57], v[160:161], s[8:9], -v[34:35]
	v_accvgpr_write_b32 a80, v90
	v_add_f64 v[102:103], v[56:57], v[58:59]
	v_fma_f64 v[56:57], s[10:11], v[162:163], v[74:75]
	v_mul_f64 v[200:201], v[48:49], s[44:45]
	v_accvgpr_write_b32 a81, v91
	v_add_f64 v[110:111], v[56:57], v[38:39]
	v_mul_f64 v[90:91], v[46:47], s[22:23]
	v_fma_f64 v[38:39], v[160:161], s[22:23], -v[200:201]
	v_add_f64 v[40:41], v[38:39], v[40:41]
	v_fma_f64 v[38:39], s[44:45], v[162:163], v[90:91]
	v_mul_f64 v[100:101], v[48:49], s[30:31]
	v_add_f64 v[188:189], v[38:39], v[20:21]
	v_mul_f64 v[220:221], v[46:47], s[2:3]
	v_fma_f64 v[20:21], v[160:161], s[2:3], -v[100:101]
	v_add_f64 v[192:193], v[20:21], v[60:61]
	v_fma_f64 v[20:21], s[30:31], v[162:163], v[220:221]
	v_mul_f64 v[106:107], v[48:49], s[26:27]
	v_add_f64 v[42:43], v[20:21], v[42:43]
	v_mul_f64 v[108:109], v[46:47], s[28:29]
	v_fma_f64 v[20:21], v[160:161], s[28:29], -v[106:107]
	v_add_f64 v[194:195], v[20:21], v[26:27]
	v_fma_f64 v[20:21], s[26:27], v[162:163], v[108:109]
	v_add_f64 v[182:183], v[156:157], -v[62:63]
	v_add_f64 v[196:197], v[20:21], v[44:45]
	v_add_f64 v[202:203], v[68:69], v[70:71]
	;; [unrolled: 1-line block ×3, first 2 shown]
	v_mul_f64 v[20:21], v[182:183], s[20:21]
	v_add_f64 v[206:207], v[68:69], -v[70:71]
	v_mul_f64 v[26:27], v[198:199], s[22:23]
	v_fma_f64 v[38:39], v[202:203], s[22:23], -v[20:21]
	v_accvgpr_write_b32 a85, v63
	v_add_f64 v[60:61], v[38:39], v[50:51]
	v_fma_f64 v[38:39], s[20:21], v[206:207], v[26:27]
	v_accvgpr_write_b32 a84, v62
	v_add_f64 v[62:63], v[38:39], v[52:53]
	v_mul_f64 v[38:39], v[182:183], s[30:31]
	v_mul_f64 v[164:165], v[198:199], s[2:3]
	v_fma_f64 v[44:45], v[202:203], s[2:3], -v[38:39]
	v_accvgpr_write_b32 a82, v156
	v_add_f64 v[56:57], v[44:45], v[54:55]
	v_fma_f64 v[44:45], s[30:31], v[206:207], v[164:165]
	v_mul_f64 v[170:171], v[182:183], s[18:19]
	v_accvgpr_write_b32 a83, v157
	v_add_f64 v[58:59], v[44:45], v[92:93]
	v_mul_f64 v[156:157], v[198:199], s[16:17]
	v_fma_f64 v[44:45], v[202:203], s[16:17], -v[170:171]
	v_add_f64 v[52:53], v[44:45], v[102:103]
	v_fma_f64 v[44:45], s[18:19], v[206:207], v[156:157]
	v_mul_f64 v[92:93], v[182:183], s[46:47]
	v_add_f64 v[54:55], v[44:45], v[110:111]
	v_mul_f64 v[102:103], v[198:199], s[8:9]
	v_fma_f64 v[44:45], v[202:203], s[8:9], -v[92:93]
	v_add_f64 v[44:45], v[44:45], v[40:41]
	v_fma_f64 v[40:41], s[46:47], v[206:207], v[102:103]
	v_add_f64 v[46:47], v[40:41], v[188:189]
	v_mul_f64 v[188:189], v[182:183], s[26:27]
	v_mul_f64 v[210:211], v[198:199], s[28:29]
	v_fma_f64 v[40:41], v[202:203], s[28:29], -v[188:189]
	v_add_f64 v[48:49], v[40:41], v[192:193]
	v_fma_f64 v[40:41], s[26:27], v[206:207], v[210:211]
	v_mul_f64 v[110:111], v[182:183], s[34:35]
	v_mul_f64 v[192:193], v[198:199], s[14:15]
	v_add_f64 v[50:51], v[40:41], v[42:43]
	v_fma_f64 v[40:41], v[202:203], s[14:15], -v[110:111]
	v_fma_f64 v[42:43], s[34:35], v[206:207], v[192:193]
	v_add_f64 v[40:41], v[40:41], v[194:195]
	v_add_f64 v[42:43], v[42:43], v[196:197]
	s_barrier
	s_and_saveexec_b64 s[36:37], vcc
	s_cbranch_execz .LBB0_13
; %bb.12:
	v_mul_f64 v[182:183], v[206:207], s[34:35]
	v_add_f64 v[182:183], v[192:193], -v[182:183]
	v_mul_f64 v[192:193], v[162:163], s[26:27]
	v_add_f64 v[108:109], v[108:109], -v[192:193]
	;; [unrolled: 2-line block ×5, first 2 shown]
	v_mul_f64 v[194:195], v[238:239], s[20:21]
	v_mul_f64 v[208:209], v[32:33], s[44:45]
	v_add_f64 v[66:67], v[66:67], -v[194:195]
	v_mul_f64 v[196:197], v[238:239], s[18:19]
	v_add_f64 v[96:97], v[96:97], -v[208:209]
	v_mul_f64 v[208:209], v[16:17], s[10:11]
	v_add_f64 v[66:67], v[174:175], v[66:67]
	v_add_f64 v[158:159], v[158:159], -v[208:209]
	v_mul_f64 v[208:209], v[2:3], s[34:35]
	v_add_f64 v[8:9], v[8:9], -v[196:197]
	v_add_f64 v[66:67], v[192:193], v[66:67]
	v_mul_f64 v[192:193], v[14:15], s[16:17]
	v_add_f64 v[36:37], v[36:37], -v[208:209]
	v_add_f64 v[8:9], v[174:175], v[8:9]
	v_add_f64 v[94:95], v[192:193], v[94:95]
	v_mul_f64 v[192:193], v[0:1], s[2:3]
	v_add_f64 v[8:9], v[36:37], v[8:9]
	v_add_f64 v[192:193], v[192:193], v[204:205]
	v_mul_f64 v[204:205], v[162:163], s[30:31]
	v_add_f64 v[8:9], v[158:159], v[8:9]
	v_add_f64 v[204:205], v[220:221], -v[204:205]
	v_add_f64 v[8:9], v[96:97], v[8:9]
	v_add_f64 v[66:67], v[98:99], v[66:67]
	;; [unrolled: 1-line block ×3, first 2 shown]
	v_mul_f64 v[204:205], v[202:203], s[28:29]
	v_add_f64 v[66:67], v[104:105], v[66:67]
	v_add_f64 v[188:189], v[204:205], v[188:189]
	v_mul_f64 v[204:205], v[160:161], s[2:3]
	v_add_f64 v[66:67], v[108:109], v[66:67]
	v_mul_f64 v[194:195], v[236:237], s[22:23]
	;; [unrolled: 2-line block ×3, first 2 shown]
	v_mul_f64 v[108:109], v[202:203], s[14:15]
	v_add_f64 v[64:65], v[194:195], v[64:65]
	v_add_f64 v[66:67], v[182:183], v[66:67]
	v_mul_f64 v[182:183], v[236:237], s[16:17]
	v_mul_f64 v[198:199], v[206:207], s[26:27]
	v_add_f64 v[88:89], v[204:205], v[88:89]
	v_mul_f64 v[204:205], v[14:15], s[8:9]
	v_add_f64 v[108:109], v[108:109], v[110:111]
	;; [unrolled: 2-line block ×3, first 2 shown]
	v_add_f64 v[198:199], v[210:211], -v[198:199]
	v_mul_f64 v[208:209], v[0:1], s[8:9]
	v_mul_f64 v[36:37], v[0:1], s[28:29]
	;; [unrolled: 1-line block ×3, first 2 shown]
	v_add_f64 v[166:167], v[204:205], v[166:167]
	v_mul_f64 v[204:205], v[0:1], s[14:15]
	v_mul_f64 v[210:211], v[0:1], s[16:17]
	v_add_f64 v[0:1], v[182:183], v[244:245]
	v_add_f64 v[106:107], v[110:111], v[106:107]
	v_mul_f64 v[110:111], v[28:29], s[8:9]
	v_add_f64 v[64:65], v[192:193], v[64:65]
	v_add_f64 v[18:19], v[204:205], v[18:19]
	;; [unrolled: 1-line block ×11, first 2 shown]
	v_mul_f64 v[108:109], v[238:239], s[26:27]
	v_add_f64 v[0:1], v[100:101], v[0:1]
	v_add_f64 v[210:211], v[210:211], v[234:235]
	v_accvgpr_read_b32 v235, a107
	v_mul_f64 v[106:107], v[236:237], s[28:29]
	v_mul_f64 v[196:197], v[2:3], s[10:11]
	;; [unrolled: 1-line block ×7, first 2 shown]
	v_add_f64 v[2:3], v[198:199], v[8:9]
	v_add_f64 v[0:1], v[188:189], v[0:1]
	v_mul_f64 v[8:9], v[16:17], s[42:43]
	v_mul_f64 v[16:17], v[16:17], s[30:31]
	;; [unrolled: 1-line block ×3, first 2 shown]
	v_add_f64 v[108:109], v[224:225], -v[108:109]
	v_accvgpr_read_b32 v234, a106
	v_add_f64 v[102:103], v[102:103], -v[188:189]
	v_mul_f64 v[188:189], v[162:163], s[44:45]
	v_add_f64 v[16:17], v[24:25], -v[16:17]
	v_add_f64 v[24:25], v[250:251], -v[218:219]
	v_add_f64 v[108:109], v[174:175], v[108:109]
	v_add_f64 v[106:107], v[106:107], v[234:235]
	v_mul_f64 v[182:183], v[14:15], s[14:15]
	v_mul_f64 v[166:167], v[14:15], s[22:23]
	;; [unrolled: 1-line block ×4, first 2 shown]
	v_add_f64 v[90:91], v[90:91], -v[188:189]
	v_mul_f64 v[188:189], v[32:33], s[24:25]
	v_add_f64 v[24:25], v[24:25], v[108:109]
	v_add_f64 v[106:107], v[172:173], v[106:107]
	v_add_f64 v[168:169], v[168:169], -v[188:189]
	v_mul_f64 v[188:189], v[28:29], s[28:29]
	v_mul_f64 v[218:219], v[28:29], s[16:17]
	;; [unrolled: 1-line block ×4, first 2 shown]
	v_add_f64 v[16:17], v[16:17], v[24:25]
	v_add_f64 v[14:15], v[14:15], v[214:215]
	;; [unrolled: 1-line block ×4, first 2 shown]
	v_mul_f64 v[168:169], v[162:163], s[18:19]
	v_add_f64 v[28:29], v[28:29], v[30:31]
	v_mul_f64 v[30:31], v[162:163], s[34:35]
	v_mul_f64 v[162:163], v[162:163], s[10:11]
	v_add_f64 v[14:15], v[14:15], v[106:107]
	v_add_f64 v[14:15], v[28:29], v[14:15]
	v_add_f64 v[28:29], v[74:75], -v[162:163]
	v_accvgpr_read_b32 v74, a100
	v_mul_f64 v[110:111], v[238:239], s[24:25]
	v_accvgpr_read_b32 v75, a101
	v_mul_f64 v[198:199], v[32:33], s[26:27]
	v_mul_f64 v[220:221], v[32:33], s[38:39]
	;; [unrolled: 1-line block ×3, first 2 shown]
	v_add_f64 v[74:75], v[74:75], -v[110:111]
	v_add_f64 v[10:11], v[10:11], -v[32:33]
	;; [unrolled: 1-line block ×3, first 2 shown]
	v_add_f64 v[74:75], v[174:175], v[74:75]
	v_add_f64 v[16:17], v[90:91], v[16:17]
	v_mul_f64 v[90:91], v[160:161], s[22:23]
	v_add_f64 v[8:9], v[248:249], -v[8:9]
	v_add_f64 v[32:33], v[32:33], v[74:75]
	v_mul_f64 v[24:25], v[202:203], s[8:9]
	v_add_f64 v[90:91], v[90:91], v[200:201]
	v_add_f64 v[8:9], v[8:9], v[32:33]
	;; [unrolled: 1-line block ×3, first 2 shown]
	v_mul_f64 v[214:215], v[206:207], s[20:21]
	v_mul_f64 v[210:211], v[206:207], s[30:31]
	;; [unrolled: 1-line block ×3, first 2 shown]
	v_add_f64 v[14:15], v[90:91], v[14:15]
	v_add_f64 v[8:9], v[10:11], v[8:9]
	v_mul_f64 v[224:225], v[160:161], s[16:17]
	v_mul_f64 v[92:93], v[160:161], s[14:15]
	;; [unrolled: 1-line block ×3, first 2 shown]
	v_add_f64 v[14:15], v[24:25], v[14:15]
	v_add_f64 v[24:25], v[156:157], -v[206:207]
	v_add_f64 v[8:9], v[28:29], v[8:9]
	v_add_f64 v[10:11], v[24:25], v[8:9]
	;; [unrolled: 1-line block ×3, first 2 shown]
	v_accvgpr_read_b32 v34, a96
	v_mul_f64 v[94:95], v[236:237], s[14:15]
	v_accvgpr_read_b32 v32, a112
	v_accvgpr_read_b32 v35, a97
	;; [unrolled: 1-line block ×3, first 2 shown]
	v_add_f64 v[34:35], v[94:95], v[34:35]
	v_add_f64 v[32:33], v[96:97], v[32:33]
	;; [unrolled: 1-line block ×6, first 2 shown]
	v_accvgpr_read_b32 v32, a94
	v_mul_f64 v[192:193], v[238:239], s[10:11]
	v_add_f64 v[22:23], v[22:23], -v[30:31]
	v_accvgpr_read_b32 v30, a108
	v_accvgpr_read_b32 v33, a95
	v_accvgpr_read_b32 v31, a109
	v_add_f64 v[32:33], v[32:33], -v[192:193]
	v_add_f64 v[4:5], v[108:109], v[4:5]
	v_add_f64 v[30:31], v[30:31], -v[158:159]
	v_add_f64 v[32:33], v[174:175], v[32:33]
	v_add_f64 v[4:5], v[4:5], v[28:29]
	v_add_f64 v[28:29], v[230:231], -v[88:89]
	v_add_f64 v[30:31], v[30:31], v[32:33]
	v_accvgpr_read_b32 v32, a92
	v_mul_f64 v[194:195], v[236:237], s[8:9]
	v_add_f64 v[28:29], v[28:29], v[30:31]
	v_accvgpr_read_b32 v30, a104
	v_accvgpr_read_b32 v33, a93
	v_mul_f64 v[200:201], v[202:203], s[22:23]
	v_mul_f64 v[234:235], v[202:203], s[2:3]
	;; [unrolled: 1-line block ×3, first 2 shown]
	v_add_f64 v[4:5], v[24:25], v[4:5]
	v_add_f64 v[24:25], v[252:253], -v[220:221]
	v_accvgpr_read_b32 v31, a105
	v_add_f64 v[32:33], v[194:195], v[32:33]
	v_add_f64 v[8:9], v[202:203], v[170:171]
	;; [unrolled: 1-line block ×6, first 2 shown]
	v_add_f64 v[4:5], v[164:165], -v[210:211]
	v_add_f64 v[22:23], v[22:23], v[24:25]
	v_add_f64 v[28:29], v[166:167], v[228:229]
	;; [unrolled: 1-line block ×11, first 2 shown]
	v_add_f64 v[4:5], v[26:27], -v[214:215]
	v_accvgpr_read_b32 v26, a114
	v_accvgpr_read_b32 v27, a115
	;; [unrolled: 1-line block ×3, first 2 shown]
	v_mul_f64 v[104:105], v[238:239], s[40:41]
	v_add_f64 v[18:19], v[26:27], -v[18:19]
	v_accvgpr_read_b32 v26, a102
	v_accvgpr_read_b32 v29, a91
	;; [unrolled: 1-line block ×3, first 2 shown]
	v_add_f64 v[28:29], v[28:29], -v[104:105]
	v_add_f64 v[26:27], v[26:27], -v[196:197]
	v_add_f64 v[28:29], v[174:175], v[28:29]
	v_add_f64 v[26:27], v[26:27], v[28:29]
	v_add_f64 v[12:13], v[240:241], -v[198:199]
	v_add_f64 v[18:19], v[18:19], v[26:27]
	v_add_f64 v[6:7], v[6:7], -v[168:169]
	v_add_f64 v[12:13], v[12:13], v[18:19]
	v_accvgpr_read_b32 v28, a88
	v_mul_f64 v[98:99], v[236:237], s[2:3]
	v_add_f64 v[6:7], v[6:7], v[12:13]
	v_accvgpr_read_b32 v26, a98
	v_accvgpr_read_b32 v29, a89
	v_add_f64 v[6:7], v[4:5], v[6:7]
	v_add_f64 v[4:5], v[200:201], v[20:21]
	v_accvgpr_read_b32 v20, a110
	v_accvgpr_read_b32 v27, a99
	v_add_f64 v[28:29], v[98:99], v[28:29]
	v_accvgpr_read_b32 v21, a111
	v_add_f64 v[26:27], v[208:209], v[26:27]
	v_add_f64 v[28:29], v[172:173], v[28:29]
	;; [unrolled: 1-line block ×10, first 2 shown]
	v_accvgpr_read_b32 v12, a72
	v_accvgpr_read_b32 v13, a73
	;; [unrolled: 1-line block ×3, first 2 shown]
	v_add_f64 v[12:13], v[174:175], v[12:13]
	v_accvgpr_read_b32 v19, a75
	v_add_f64 v[12:13], v[12:13], v[18:19]
	v_accvgpr_read_b32 v18, a76
	v_accvgpr_read_b32 v19, a77
	v_add_f64 v[12:13], v[12:13], v[18:19]
	v_accvgpr_read_b32 v18, a78
	;; [unrolled: 3-line block ×6, first 2 shown]
	v_accvgpr_read_b32 v19, a87
	v_add_f64 v[12:13], v[12:13], v[18:19]
	v_add_f64 v[12:13], v[12:13], v[86:87]
	;; [unrolled: 1-line block ×17, first 2 shown]
	v_accvgpr_read_b32 v12, a1
	v_mul_u32_u24_e32 v12, 0x82, v12
	v_accvgpr_read_b32 v13, a42
	v_add_lshl_u32 v12, v12, v13, 4
	v_add_f64 v[16:17], v[102:103], v[16:17]
	ds_write_b128 v12, v[18:21]
	ds_write_b128 v12, v[4:7] offset:160
	ds_write_b128 v12, v[22:25] offset:320
	;; [unrolled: 1-line block ×12, first 2 shown]
.LBB0_13:
	s_or_b64 exec, exec, s[36:37]
	s_waitcnt lgkmcnt(0)
	s_barrier
	ds_read_b128 v[64:67], v212
	ds_read_b128 v[160:163], v212 offset:4160
	ds_read_b128 v[84:87], v212 offset:8320
	;; [unrolled: 1-line block ×6, first 2 shown]
	s_and_saveexec_b64 s[2:3], s[0:1]
	s_cbranch_execz .LBB0_15
; %bb.14:
	ds_read_b128 v[40:43], v212 offset:2912
	ds_read_b128 v[48:51], v212 offset:7072
	;; [unrolled: 1-line block ×7, first 2 shown]
.LBB0_15:
	s_or_b64 exec, exec, s[2:3]
	s_waitcnt lgkmcnt(5)
	v_mul_f64 v[0:1], v[126:127], v[162:163]
	s_waitcnt lgkmcnt(4)
	v_mul_f64 v[4:5], v[122:123], v[86:87]
	;; [unrolled: 2-line block ×4, first 2 shown]
	v_fmac_f64_e32 v[0:1], v[124:125], v[160:161]
	v_mul_f64 v[2:3], v[126:127], v[160:161]
	v_fmac_f64_e32 v[4:5], v[120:121], v[84:85]
	v_mul_f64 v[6:7], v[122:123], v[84:85]
	v_mul_f64 v[8:9], v[118:119], v[82:83]
	;; [unrolled: 1-line block ×3, first 2 shown]
	v_fmac_f64_e32 v[16:17], v[132:133], v[72:73]
	v_mul_f64 v[18:19], v[134:135], v[72:73]
	v_fmac_f64_e32 v[20:21], v[128:129], v[68:69]
	v_mul_f64 v[22:23], v[130:131], v[68:69]
	v_fma_f64 v[2:3], v[124:125], v[162:163], -v[2:3]
	v_fma_f64 v[6:7], v[120:121], v[86:87], -v[6:7]
	v_fmac_f64_e32 v[8:9], v[116:117], v[80:81]
	v_mul_f64 v[10:11], v[118:119], v[80:81]
	v_fmac_f64_e32 v[12:13], v[112:113], v[76:77]
	v_mul_f64 v[14:15], v[114:115], v[76:77]
	v_fma_f64 v[18:19], v[132:133], v[74:75], -v[18:19]
	v_fma_f64 v[22:23], v[128:129], v[70:71], -v[22:23]
	v_add_f64 v[24:25], v[0:1], v[20:21]
	v_add_f64 v[0:1], v[0:1], -v[20:21]
	v_add_f64 v[20:21], v[4:5], v[16:17]
	v_fma_f64 v[10:11], v[116:117], v[82:83], -v[10:11]
	v_fma_f64 v[14:15], v[112:113], v[78:79], -v[14:15]
	v_add_f64 v[26:27], v[2:3], v[22:23]
	v_add_f64 v[2:3], v[2:3], -v[22:23]
	v_add_f64 v[22:23], v[6:7], v[18:19]
	v_add_f64 v[4:5], v[4:5], -v[16:17]
	v_add_f64 v[16:17], v[8:9], v[12:13]
	v_add_f64 v[8:9], v[12:13], -v[8:9]
	v_add_f64 v[12:13], v[20:21], v[24:25]
	v_add_f64 v[6:7], v[6:7], -v[18:19]
	v_add_f64 v[18:19], v[10:11], v[14:15]
	v_add_f64 v[10:11], v[14:15], -v[10:11]
	v_add_f64 v[14:15], v[22:23], v[26:27]
	v_add_f64 v[32:33], v[8:9], v[4:5]
	;; [unrolled: 1-line block ×3, first 2 shown]
	v_add_f64 v[28:29], v[20:21], -v[24:25]
	v_add_f64 v[24:25], v[24:25], -v[16:17]
	;; [unrolled: 1-line block ×3, first 2 shown]
	v_add_f64 v[34:35], v[10:11], v[6:7]
	v_add_f64 v[36:37], v[8:9], -v[4:5]
	v_add_f64 v[8:9], v[0:1], -v[8:9]
	;; [unrolled: 1-line block ×3, first 2 shown]
	v_add_f64 v[14:15], v[18:19], v[14:15]
	v_add_f64 v[16:17], v[32:33], v[0:1]
	;; [unrolled: 1-line block ×3, first 2 shown]
	s_mov_b32 s10, 0x37e14327
	s_mov_b32 s14, 0x36b3c0b5
	;; [unrolled: 1-line block ×5, first 2 shown]
	v_add_f64 v[30:31], v[22:23], -v[26:27]
	v_add_f64 v[26:27], v[26:27], -v[18:19]
	;; [unrolled: 1-line block ×6, first 2 shown]
	v_add_f64 v[18:19], v[34:35], v[2:3]
	v_add_f64 v[2:3], v[66:67], v[14:15]
	s_mov_b32 s11, 0x3fe948f6
	s_mov_b32 s15, 0x3fac98ee
	;; [unrolled: 1-line block ×5, first 2 shown]
	v_mov_b64_e32 v[68:69], v[0:1]
	s_mov_b32 s8, 0x5476071b
	s_mov_b32 s26, 0xb247c609
	v_mul_f64 v[24:25], v[24:25], s[10:11]
	v_mul_f64 v[26:27], v[26:27], s[10:11]
	;; [unrolled: 1-line block ×8, first 2 shown]
	v_fmac_f64_e32 v[68:69], s[24:25], v[12:13]
	v_mov_b64_e32 v[12:13], v[2:3]
	s_mov_b32 s9, 0x3fe77f67
	s_mov_b32 s19, 0xbfe77f67
	;; [unrolled: 1-line block ×7, first 2 shown]
	v_fmac_f64_e32 v[12:13], s[24:25], v[14:15]
	v_fma_f64 v[14:15], v[28:29], s[8:9], -v[32:33]
	v_fma_f64 v[32:33], v[30:31], s[8:9], -v[34:35]
	;; [unrolled: 1-line block ×3, first 2 shown]
	v_fmac_f64_e32 v[24:25], s[14:15], v[20:21]
	v_fma_f64 v[20:21], v[30:31], s[18:19], -v[26:27]
	v_fmac_f64_e32 v[26:27], s[14:15], v[22:23]
	v_fma_f64 v[22:23], v[4:5], s[2:3], -v[36:37]
	;; [unrolled: 2-line block ×4, first 2 shown]
	v_fma_f64 v[64:65], v[10:11], s[22:23], -v[66:67]
	s_mov_b32 s21, 0xbfdc38aa
	v_add_f64 v[24:25], v[24:25], v[68:69]
	v_add_f64 v[26:27], v[26:27], v[12:13]
	;; [unrolled: 1-line block ×6, first 2 shown]
	v_fmac_f64_e32 v[36:37], s[20:21], v[16:17]
	v_fmac_f64_e32 v[38:39], s[20:21], v[18:19]
	;; [unrolled: 1-line block ×6, first 2 shown]
	v_add_f64 v[4:5], v[38:39], v[24:25]
	v_add_f64 v[6:7], v[26:27], -v[36:37]
	v_add_f64 v[8:9], v[64:65], v[28:29]
	v_add_f64 v[10:11], v[68:69], -v[34:35]
	v_add_f64 v[12:13], v[66:67], -v[30:31]
	v_add_f64 v[14:15], v[22:23], v[32:33]
	v_add_f64 v[16:17], v[30:31], v[66:67]
	v_add_f64 v[18:19], v[32:33], -v[22:23]
	v_add_f64 v[20:21], v[28:29], -v[64:65]
	v_add_f64 v[22:23], v[34:35], v[68:69]
	v_add_f64 v[24:25], v[24:25], -v[38:39]
	v_add_f64 v[26:27], v[36:37], v[26:27]
	s_barrier
	ds_write_b128 v222, v[0:3]
	ds_write_b128 v222, v[4:7] offset:2080
	ds_write_b128 v222, v[8:11] offset:4160
	;; [unrolled: 1-line block ×6, first 2 shown]
	s_and_saveexec_b64 s[28:29], s[0:1]
	s_cbranch_execz .LBB0_17
; %bb.16:
	v_accvgpr_read_b32 v30, a56
	v_accvgpr_read_b32 v79, a67
	;; [unrolled: 1-line block ×17, first 2 shown]
	v_mul_f64 v[0:1], v[32:33], v[50:51]
	v_accvgpr_read_b32 v77, a65
	v_accvgpr_read_b32 v76, a64
	;; [unrolled: 1-line block ×4, first 2 shown]
	v_mul_f64 v[4:5], v[78:79], v[82:83]
	v_accvgpr_read_b32 v65, a45
	v_accvgpr_read_b32 v64, a44
	v_mul_f64 v[10:11], v[66:67], v[58:59]
	v_accvgpr_read_b32 v69, a49
	v_accvgpr_read_b32 v68, a48
	v_mul_f64 v[12:13], v[70:71], v[54:55]
	v_accvgpr_read_b32 v37, a53
	v_mul_f64 v[16:17], v[38:39], v[46:47]
	v_accvgpr_read_b32 v73, a61
	v_accvgpr_read_b32 v72, a60
	v_mul_f64 v[18:19], v[74:75], v[62:63]
	v_fmac_f64_e32 v[0:1], v[30:31], v[48:49]
	v_fmac_f64_e32 v[4:5], v[76:77], v[80:81]
	;; [unrolled: 1-line block ×6, first 2 shown]
	v_add_f64 v[8:9], v[0:1], -v[4:5]
	v_add_f64 v[2:3], v[10:11], -v[12:13]
	;; [unrolled: 1-line block ×5, first 2 shown]
	v_add_f64 v[2:3], v[2:3], v[20:21]
	v_add_f64 v[26:27], v[2:3], v[8:9]
	v_mul_f64 v[2:3], v[78:79], v[80:81]
	v_fma_f64 v[28:29], v[76:77], v[82:83], -v[2:3]
	v_mul_f64 v[2:3], v[32:33], v[48:49]
	v_fma_f64 v[30:31], v[30:31], v[50:51], -v[2:3]
	v_mul_f64 v[2:3], v[74:75], v[60:61]
	v_mul_f64 v[22:23], v[6:7], s[16:17]
	v_fma_f64 v[34:35], v[72:73], v[62:63], -v[2:3]
	v_mul_f64 v[2:3], v[38:39], v[44:45]
	v_mul_f64 v[6:7], v[70:71], v[52:53]
	v_fma_f64 v[36:37], v[36:37], v[46:47], -v[2:3]
	v_fma_f64 v[44:45], v[68:69], v[54:55], -v[6:7]
	v_mul_f64 v[6:7], v[66:67], v[56:57]
	v_add_f64 v[32:33], v[30:31], v[28:29]
	v_add_f64 v[38:39], v[36:37], v[34:35]
	v_fma_f64 v[46:47], v[64:65], v[58:59], -v[6:7]
	v_add_f64 v[54:55], v[0:1], v[4:5]
	v_add_f64 v[16:17], v[16:17], v[18:19]
	;; [unrolled: 1-line block ×10, first 2 shown]
	v_mov_b64_e32 v[42:43], v[2:3]
	v_mov_b64_e32 v[12:13], v[0:1]
	v_add_f64 v[20:21], v[20:21], -v[8:9]
	v_fmac_f64_e32 v[42:43], s[24:25], v[48:49]
	v_add_f64 v[48:49], v[32:33], -v[6:7]
	v_fmac_f64_e32 v[12:13], s[24:25], v[10:11]
	v_add_f64 v[10:11], v[54:55], -v[4:5]
	v_mul_f64 v[8:9], v[20:21], s[2:3]
	v_fma_f64 v[24:25], s[26:27], v[14:15], v[22:23]
	v_mul_f64 v[48:49], v[48:49], s[10:11]
	v_mul_f64 v[18:19], v[10:11], s[10:11]
	v_add_f64 v[4:5], v[4:5], -v[16:17]
	v_fma_f64 v[58:59], v[14:15], s[22:23], -v[8:9]
	v_add_f64 v[14:15], v[38:39], -v[32:33]
	v_mul_f64 v[40:41], v[4:5], s[14:15]
	v_fma_f64 v[4:5], s[14:15], v[4:5], v[18:19]
	v_add_f64 v[28:29], v[30:31], -v[28:29]
	v_add_f64 v[34:35], v[36:37], -v[34:35]
	v_fma_f64 v[8:9], v[14:15], s[18:19], -v[48:49]
	v_add_f64 v[16:17], v[16:17], -v[54:55]
	v_add_f64 v[6:7], v[6:7], -v[38:39]
	v_add_f64 v[56:57], v[4:5], v[12:13]
	v_add_f64 v[4:5], v[46:47], -v[44:45]
	v_add_f64 v[32:33], v[8:9], v[42:43]
	v_fma_f64 v[8:9], v[16:17], s[18:19], -v[18:19]
	v_add_f64 v[18:19], v[34:35], -v[28:29]
	v_mul_f64 v[50:51], v[6:7], s[14:15]
	v_add_f64 v[30:31], v[28:29], -v[4:5]
	v_add_f64 v[10:11], v[4:5], -v[34:35]
	v_add_f64 v[4:5], v[4:5], v[34:35]
	v_add_f64 v[38:39], v[8:9], v[12:13]
	v_mul_f64 v[8:9], v[18:19], s[2:3]
	v_mul_f64 v[36:37], v[10:11], s[16:17]
	v_add_f64 v[46:47], v[4:5], v[28:29]
	v_fma_f64 v[28:29], v[30:31], s[22:23], -v[8:9]
	v_fma_f64 v[14:15], v[14:15], s[8:9], -v[50:51]
	;; [unrolled: 1-line block ×3, first 2 shown]
	v_fma_f64 v[6:7], s[14:15], v[6:7], v[48:49]
	v_fma_f64 v[44:45], s[26:27], v[30:31], v[36:37]
	v_fmac_f64_e32 v[28:29], s[20:21], v[46:47]
	v_add_f64 v[30:31], v[14:15], v[42:43]
	v_fmac_f64_e32 v[20:21], s[20:21], v[26:27]
	v_fma_f64 v[16:17], v[16:17], s[8:9], -v[40:41]
	v_fma_f64 v[22:23], v[18:19], s[2:3], -v[36:37]
	v_fmac_f64_e32 v[24:25], s[20:21], v[26:27]
	v_add_f64 v[52:53], v[6:7], v[42:43]
	v_fmac_f64_e32 v[44:45], s[20:21], v[46:47]
	v_fmac_f64_e32 v[58:59], s[20:21], v[26:27]
	v_add_f64 v[8:9], v[38:39], -v[28:29]
	v_add_f64 v[14:15], v[30:31], -v[20:21]
	v_add_f64 v[16:17], v[16:17], v[12:13]
	v_fmac_f64_e32 v[22:23], s[20:21], v[46:47]
	v_add_f64 v[18:19], v[20:21], v[30:31]
	v_add_f64 v[20:21], v[28:29], v[38:39]
	v_accvgpr_read_b32 v28, a43
	v_add_f64 v[6:7], v[24:25], v[52:53]
	v_add_f64 v[4:5], v[56:57], -v[44:45]
	v_add_f64 v[10:11], v[58:59], v[32:33]
	v_add_f64 v[12:13], v[22:23], v[16:17]
	v_add_f64 v[16:17], v[16:17], -v[22:23]
	v_add_f64 v[22:23], v[32:33], -v[58:59]
	;; [unrolled: 1-line block ×3, first 2 shown]
	v_add_f64 v[24:25], v[44:45], v[56:57]
	ds_write_b128 v28, v[0:3] offset:14560
	ds_write_b128 v28, v[24:27] offset:16640
	;; [unrolled: 1-line block ×7, first 2 shown]
.LBB0_17:
	s_or_b64 exec, exec, s[28:29]
	s_waitcnt lgkmcnt(0)
	s_barrier
	ds_read_b128 v[4:7], v212 offset:14560
	ds_read_b128 v[8:11], v212
	ds_read_b128 v[12:15], v212 offset:2912
	ds_read_b128 v[16:19], v212 offset:17472
	;; [unrolled: 1-line block ×8, first 2 shown]
	s_waitcnt lgkmcnt(9)
	v_mul_f64 v[46:47], v[142:143], v[6:7]
	v_fmac_f64_e32 v[46:47], v[140:141], v[4:5]
	v_mul_f64 v[4:5], v[142:143], v[4:5]
	v_fma_f64 v[6:7], v[140:141], v[6:7], -v[4:5]
	s_waitcnt lgkmcnt(6)
	v_mul_f64 v[4:5], v[138:139], v[16:17]
	v_mul_f64 v[48:49], v[138:139], v[18:19]
	v_fma_f64 v[18:19], v[136:137], v[18:19], -v[4:5]
	s_waitcnt lgkmcnt(5)
	v_mul_f64 v[4:5], v[150:151], v[20:21]
	v_mul_f64 v[50:51], v[150:151], v[22:23]
	v_fma_f64 v[22:23], v[148:149], v[22:23], -v[4:5]
	s_waitcnt lgkmcnt(1)
	v_mul_f64 v[4:5], v[146:147], v[36:37]
	v_mul_f64 v[52:53], v[146:147], v[38:39]
	v_fma_f64 v[38:39], v[144:145], v[38:39], -v[4:5]
	s_waitcnt lgkmcnt(0)
	v_mul_f64 v[54:55], v[154:155], v[42:43]
	v_mul_f64 v[4:5], v[154:155], v[40:41]
	v_fmac_f64_e32 v[48:49], v[136:137], v[16:17]
	v_fmac_f64_e32 v[50:51], v[148:149], v[20:21]
	;; [unrolled: 1-line block ×4, first 2 shown]
	v_fma_f64 v[42:43], v[152:153], v[42:43], -v[4:5]
	v_add_f64 v[4:5], v[8:9], -v[46:47]
	v_add_f64 v[6:7], v[10:11], -v[6:7]
	v_fma_f64 v[8:9], v[8:9], 2.0, -v[4:5]
	v_fma_f64 v[10:11], v[10:11], 2.0, -v[6:7]
	v_add_f64 v[16:17], v[12:13], -v[48:49]
	v_add_f64 v[18:19], v[14:15], -v[18:19]
	;; [unrolled: 1-line block ×8, first 2 shown]
	v_fma_f64 v[12:13], v[12:13], 2.0, -v[16:17]
	v_fma_f64 v[14:15], v[14:15], 2.0, -v[18:19]
	;; [unrolled: 1-line block ×8, first 2 shown]
	ds_write_b128 v212, v[8:11]
	ds_write_b128 v212, v[4:7] offset:14560
	ds_write_b128 v212, v[12:15] offset:2912
	;; [unrolled: 1-line block ×9, first 2 shown]
	s_waitcnt lgkmcnt(0)
	s_barrier
	ds_read_b128 v[4:7], v212
	v_accvgpr_read_b32 v56, a0
	v_mad_u64_u32 v[2:3], s[0:1], s6, v56, 0
	v_mov_b32_e32 v44, v3
	v_accvgpr_read_b32 v17, a9
	v_mad_u64_u32 v[8:9], s[0:1], s7, v56, v[44:45]
	v_accvgpr_read_b32 v16, a8
	v_mov_b32_e32 v3, v8
	ds_read_b128 v[8:11], v212 offset:2912
	v_accvgpr_read_b32 v15, a7
	v_accvgpr_read_b32 v14, a6
	s_waitcnt lgkmcnt(1)
	v_mul_f64 v[12:13], v[16:17], v[6:7]
	v_fmac_f64_e32 v[12:13], v[14:15], v[4:5]
	s_mov_b32 s0, 0x12012012
	v_mul_f64 v[4:5], v[16:17], v[4:5]
	s_mov_b32 s1, 0x3f420120
	v_fma_f64 v[4:5], v[14:15], v[6:7], -v[4:5]
	v_mul_f64 v[14:15], v[4:5], s[0:1]
	v_mad_u64_u32 v[4:5], s[2:3], s4, v223, 0
	v_mov_b32_e32 v6, v5
	v_mov_b32_e32 v0, s12
	;; [unrolled: 1-line block ×3, first 2 shown]
	v_mad_u64_u32 v[6:7], s[2:3], s5, v223, v[6:7]
	v_mov_b32_e32 v5, v6
	v_lshl_add_u64 v[0:1], v[2:3], 4, v[0:1]
	v_mul_f64 v[12:13], v[12:13], s[0:1]
	v_lshl_add_u64 v[4:5], v[4:5], 4, v[0:1]
	global_store_dwordx4 v[4:5], v[12:15], off
	v_accvgpr_read_b32 v16, a26
	v_accvgpr_read_b32 v18, a28
	;; [unrolled: 1-line block ×6, first 2 shown]
	s_waitcnt lgkmcnt(0)
	v_mul_f64 v[0:1], v[14:15], v[10:11]
	v_mul_f64 v[2:3], v[14:15], v[8:9]
	v_mov_b32_e32 v14, 0xb60
	v_fmac_f64_e32 v[0:1], v[12:13], v[8:9]
	v_fma_f64 v[2:3], v[12:13], v[10:11], -v[2:3]
	v_mad_u64_u32 v[12:13], s[2:3], s4, v14, v[4:5]
	ds_read_b128 v[4:7], v212 offset:5824
	s_mul_i32 s2, s5, 0xb60
	v_mul_f64 v[0:1], v[0:1], s[0:1]
	v_mul_f64 v[2:3], v[2:3], s[0:1]
	v_add_u32_e32 v13, s2, v13
	v_accvgpr_read_b32 v19, a29
	global_store_dwordx4 v[12:13], v[0:3], off
	ds_read_b128 v[0:3], v212 offset:8736
	v_accvgpr_read_b32 v17, a27
	s_waitcnt lgkmcnt(1)
	v_mul_f64 v[8:9], v[18:19], v[6:7]
	v_fmac_f64_e32 v[8:9], v[16:17], v[4:5]
	v_mul_f64 v[4:5], v[18:19], v[4:5]
	v_fma_f64 v[4:5], v[16:17], v[6:7], -v[4:5]
	v_mad_u64_u32 v[12:13], s[6:7], s4, v14, v[12:13]
	v_mul_f64 v[8:9], v[8:9], s[0:1]
	v_mul_f64 v[10:11], v[4:5], s[0:1]
	v_add_u32_e32 v13, s2, v13
	global_store_dwordx4 v[12:13], v[8:11], off
	v_accvgpr_read_b32 v6, a10
	v_accvgpr_read_b32 v7, a11
	v_accvgpr_read_b32 v8, a12
	v_accvgpr_read_b32 v9, a13
	s_waitcnt lgkmcnt(0)
	v_mul_f64 v[4:5], v[8:9], v[2:3]
	v_fmac_f64_e32 v[4:5], v[6:7], v[0:1]
	v_mul_f64 v[0:1], v[8:9], v[0:1]
	v_fma_f64 v[0:1], v[6:7], v[2:3], -v[0:1]
	v_mul_f64 v[6:7], v[0:1], s[0:1]
	ds_read_b128 v[0:3], v212 offset:11648
	v_mad_u64_u32 v[12:13], s[6:7], s4, v14, v[12:13]
	v_accvgpr_read_b32 v16, a30
	v_mul_f64 v[4:5], v[4:5], s[0:1]
	v_add_u32_e32 v13, s2, v13
	v_accvgpr_read_b32 v18, a32
	v_accvgpr_read_b32 v19, a33
	global_store_dwordx4 v[12:13], v[4:7], off
	ds_read_b128 v[4:7], v212 offset:14560
	v_accvgpr_read_b32 v17, a31
	s_waitcnt lgkmcnt(1)
	v_mul_f64 v[8:9], v[18:19], v[2:3]
	v_fmac_f64_e32 v[8:9], v[16:17], v[0:1]
	v_mul_f64 v[0:1], v[18:19], v[0:1]
	v_fma_f64 v[0:1], v[16:17], v[2:3], -v[0:1]
	v_mad_u64_u32 v[12:13], s[6:7], s4, v14, v[12:13]
	v_mul_f64 v[8:9], v[8:9], s[0:1]
	v_mul_f64 v[10:11], v[0:1], s[0:1]
	v_add_u32_e32 v13, s2, v13
	global_store_dwordx4 v[12:13], v[8:11], off
	v_mad_u64_u32 v[12:13], s[6:7], s4, v14, v[12:13]
	s_nop 0
	v_accvgpr_read_b32 v8, a14
	v_accvgpr_read_b32 v10, a16
	;; [unrolled: 1-line block ×4, first 2 shown]
	s_waitcnt lgkmcnt(0)
	v_mul_f64 v[0:1], v[10:11], v[6:7]
	v_mul_f64 v[2:3], v[10:11], v[4:5]
	v_fmac_f64_e32 v[0:1], v[8:9], v[4:5]
	v_fma_f64 v[2:3], v[8:9], v[6:7], -v[2:3]
	ds_read_b128 v[4:7], v212 offset:17472
	v_accvgpr_read_b32 v16, a38
	v_mul_f64 v[0:1], v[0:1], s[0:1]
	v_mul_f64 v[2:3], v[2:3], s[0:1]
	v_add_u32_e32 v13, s2, v13
	v_accvgpr_read_b32 v18, a40
	v_accvgpr_read_b32 v19, a41
	global_store_dwordx4 v[12:13], v[0:3], off
	ds_read_b128 v[0:3], v212 offset:20384
	v_accvgpr_read_b32 v17, a39
	s_waitcnt lgkmcnt(1)
	v_mul_f64 v[8:9], v[18:19], v[6:7]
	v_fmac_f64_e32 v[8:9], v[16:17], v[4:5]
	v_mul_f64 v[4:5], v[18:19], v[4:5]
	v_fma_f64 v[4:5], v[16:17], v[6:7], -v[4:5]
	v_mad_u64_u32 v[12:13], s[6:7], s4, v14, v[12:13]
	v_mul_f64 v[8:9], v[8:9], s[0:1]
	v_mul_f64 v[10:11], v[4:5], s[0:1]
	v_add_u32_e32 v13, s2, v13
	global_store_dwordx4 v[12:13], v[8:11], off
	v_accvgpr_read_b32 v6, a22
	v_accvgpr_read_b32 v7, a23
	;; [unrolled: 1-line block ×4, first 2 shown]
	s_waitcnt lgkmcnt(0)
	v_mul_f64 v[4:5], v[8:9], v[2:3]
	v_fmac_f64_e32 v[4:5], v[6:7], v[0:1]
	v_mul_f64 v[0:1], v[8:9], v[0:1]
	v_fma_f64 v[0:1], v[6:7], v[2:3], -v[0:1]
	v_mul_f64 v[6:7], v[0:1], s[0:1]
	ds_read_b128 v[0:3], v212 offset:23296
	v_mad_u64_u32 v[12:13], s[6:7], s4, v14, v[12:13]
	v_accvgpr_read_b32 v16, a18
	v_mul_f64 v[4:5], v[4:5], s[0:1]
	v_add_u32_e32 v13, s2, v13
	v_accvgpr_read_b32 v18, a20
	v_accvgpr_read_b32 v19, a21
	global_store_dwordx4 v[12:13], v[4:7], off
	ds_read_b128 v[4:7], v212 offset:26208
	v_accvgpr_read_b32 v17, a19
	s_waitcnt lgkmcnt(1)
	v_mul_f64 v[8:9], v[18:19], v[2:3]
	v_fmac_f64_e32 v[8:9], v[16:17], v[0:1]
	v_mul_f64 v[0:1], v[18:19], v[0:1]
	v_fma_f64 v[0:1], v[16:17], v[2:3], -v[0:1]
	v_mad_u64_u32 v[12:13], s[6:7], s4, v14, v[12:13]
	v_mul_f64 v[8:9], v[8:9], s[0:1]
	v_mul_f64 v[10:11], v[0:1], s[0:1]
	v_add_u32_e32 v13, s2, v13
	global_store_dwordx4 v[12:13], v[8:11], off
	s_nop 1
	v_accvgpr_read_b32 v8, a34
	v_accvgpr_read_b32 v10, a36
	;; [unrolled: 1-line block ×4, first 2 shown]
	s_waitcnt lgkmcnt(0)
	v_mul_f64 v[0:1], v[10:11], v[6:7]
	v_mul_f64 v[2:3], v[10:11], v[4:5]
	v_fmac_f64_e32 v[0:1], v[8:9], v[4:5]
	v_fma_f64 v[2:3], v[8:9], v[6:7], -v[2:3]
	v_mul_f64 v[0:1], v[0:1], s[0:1]
	v_mul_f64 v[2:3], v[2:3], s[0:1]
	v_mad_u64_u32 v[4:5], s[0:1], s4, v14, v[12:13]
	v_add_u32_e32 v5, s2, v5
	global_store_dwordx4 v[4:5], v[0:3], off
.LBB0_18:
	s_endpgm
	.section	.rodata,"a",@progbits
	.p2align	6, 0x0
	.amdhsa_kernel bluestein_single_back_len1820_dim1_dp_op_CI_CI
		.amdhsa_group_segment_fixed_size 29120
		.amdhsa_private_segment_fixed_size 0
		.amdhsa_kernarg_size 104
		.amdhsa_user_sgpr_count 2
		.amdhsa_user_sgpr_dispatch_ptr 0
		.amdhsa_user_sgpr_queue_ptr 0
		.amdhsa_user_sgpr_kernarg_segment_ptr 1
		.amdhsa_user_sgpr_dispatch_id 0
		.amdhsa_user_sgpr_kernarg_preload_length 0
		.amdhsa_user_sgpr_kernarg_preload_offset 0
		.amdhsa_user_sgpr_private_segment_size 0
		.amdhsa_uses_dynamic_stack 0
		.amdhsa_enable_private_segment 0
		.amdhsa_system_sgpr_workgroup_id_x 1
		.amdhsa_system_sgpr_workgroup_id_y 0
		.amdhsa_system_sgpr_workgroup_id_z 0
		.amdhsa_system_sgpr_workgroup_info 0
		.amdhsa_system_vgpr_workitem_id 0
		.amdhsa_next_free_vgpr 372
		.amdhsa_next_free_sgpr 48
		.amdhsa_accum_offset 256
		.amdhsa_reserve_vcc 1
		.amdhsa_float_round_mode_32 0
		.amdhsa_float_round_mode_16_64 0
		.amdhsa_float_denorm_mode_32 3
		.amdhsa_float_denorm_mode_16_64 3
		.amdhsa_dx10_clamp 1
		.amdhsa_ieee_mode 1
		.amdhsa_fp16_overflow 0
		.amdhsa_tg_split 0
		.amdhsa_exception_fp_ieee_invalid_op 0
		.amdhsa_exception_fp_denorm_src 0
		.amdhsa_exception_fp_ieee_div_zero 0
		.amdhsa_exception_fp_ieee_overflow 0
		.amdhsa_exception_fp_ieee_underflow 0
		.amdhsa_exception_fp_ieee_inexact 0
		.amdhsa_exception_int_div_zero 0
	.end_amdhsa_kernel
	.text
.Lfunc_end0:
	.size	bluestein_single_back_len1820_dim1_dp_op_CI_CI, .Lfunc_end0-bluestein_single_back_len1820_dim1_dp_op_CI_CI
                                        ; -- End function
	.section	.AMDGPU.csdata,"",@progbits
; Kernel info:
; codeLenInByte = 22736
; NumSgprs: 54
; NumVgprs: 256
; NumAgprs: 116
; TotalNumVgprs: 372
; ScratchSize: 0
; MemoryBound: 0
; FloatMode: 240
; IeeeMode: 1
; LDSByteSize: 29120 bytes/workgroup (compile time only)
; SGPRBlocks: 6
; VGPRBlocks: 46
; NumSGPRsForWavesPerEU: 54
; NumVGPRsForWavesPerEU: 372
; AccumOffset: 256
; Occupancy: 1
; WaveLimiterHint : 1
; COMPUTE_PGM_RSRC2:SCRATCH_EN: 0
; COMPUTE_PGM_RSRC2:USER_SGPR: 2
; COMPUTE_PGM_RSRC2:TRAP_HANDLER: 0
; COMPUTE_PGM_RSRC2:TGID_X_EN: 1
; COMPUTE_PGM_RSRC2:TGID_Y_EN: 0
; COMPUTE_PGM_RSRC2:TGID_Z_EN: 0
; COMPUTE_PGM_RSRC2:TIDIG_COMP_CNT: 0
; COMPUTE_PGM_RSRC3_GFX90A:ACCUM_OFFSET: 63
; COMPUTE_PGM_RSRC3_GFX90A:TG_SPLIT: 0
	.text
	.p2alignl 6, 3212836864
	.fill 256, 4, 3212836864
	.type	__hip_cuid_c6e7dfd21412b201,@object ; @__hip_cuid_c6e7dfd21412b201
	.section	.bss,"aw",@nobits
	.globl	__hip_cuid_c6e7dfd21412b201
__hip_cuid_c6e7dfd21412b201:
	.byte	0                               ; 0x0
	.size	__hip_cuid_c6e7dfd21412b201, 1

	.ident	"AMD clang version 19.0.0git (https://github.com/RadeonOpenCompute/llvm-project roc-6.4.0 25133 c7fe45cf4b819c5991fe208aaa96edf142730f1d)"
	.section	".note.GNU-stack","",@progbits
	.addrsig
	.addrsig_sym __hip_cuid_c6e7dfd21412b201
	.amdgpu_metadata
---
amdhsa.kernels:
  - .agpr_count:     116
    .args:
      - .actual_access:  read_only
        .address_space:  global
        .offset:         0
        .size:           8
        .value_kind:     global_buffer
      - .actual_access:  read_only
        .address_space:  global
        .offset:         8
        .size:           8
        .value_kind:     global_buffer
      - .actual_access:  read_only
        .address_space:  global
        .offset:         16
        .size:           8
        .value_kind:     global_buffer
      - .actual_access:  read_only
        .address_space:  global
        .offset:         24
        .size:           8
        .value_kind:     global_buffer
      - .actual_access:  read_only
        .address_space:  global
        .offset:         32
        .size:           8
        .value_kind:     global_buffer
      - .offset:         40
        .size:           8
        .value_kind:     by_value
      - .address_space:  global
        .offset:         48
        .size:           8
        .value_kind:     global_buffer
      - .address_space:  global
        .offset:         56
        .size:           8
        .value_kind:     global_buffer
      - .address_space:  global
        .offset:         64
        .size:           8
        .value_kind:     global_buffer
      - .address_space:  global
        .offset:         72
        .size:           8
        .value_kind:     global_buffer
      - .offset:         80
        .size:           4
        .value_kind:     by_value
      - .address_space:  global
        .offset:         88
        .size:           8
        .value_kind:     global_buffer
      - .address_space:  global
        .offset:         96
        .size:           8
        .value_kind:     global_buffer
    .group_segment_fixed_size: 29120
    .kernarg_segment_align: 8
    .kernarg_segment_size: 104
    .language:       OpenCL C
    .language_version:
      - 2
      - 0
    .max_flat_workgroup_size: 182
    .name:           bluestein_single_back_len1820_dim1_dp_op_CI_CI
    .private_segment_fixed_size: 0
    .sgpr_count:     54
    .sgpr_spill_count: 0
    .symbol:         bluestein_single_back_len1820_dim1_dp_op_CI_CI.kd
    .uniform_work_group_size: 1
    .uses_dynamic_stack: false
    .vgpr_count:     372
    .vgpr_spill_count: 0
    .wavefront_size: 64
amdhsa.target:   amdgcn-amd-amdhsa--gfx950
amdhsa.version:
  - 1
  - 2
...

	.end_amdgpu_metadata
